;; amdgpu-corpus repo=ggml-org/llama.cpp kind=compiled arch=gfx950 opt=O3
	.amdgcn_target "amdgcn-amd-amdhsa--gfx950"
	.amdhsa_code_object_version 6
	.section	.text._ZL18flash_attn_ext_vecILi64ELi1EL9ggml_type3ELS0_30ELb0EEvPKcS2_S2_S2_S2_PKiPfP15HIP_vector_typeIfLj2EEffffjfiS6_IjLj3EEiiiiiiiiiiiliiliiiiil,"axG",@progbits,_ZL18flash_attn_ext_vecILi64ELi1EL9ggml_type3ELS0_30ELb0EEvPKcS2_S2_S2_S2_PKiPfP15HIP_vector_typeIfLj2EEffffjfiS6_IjLj3EEiiiiiiiiiiiliiliiiiil,comdat
	.globl	_ZL18flash_attn_ext_vecILi64ELi1EL9ggml_type3ELS0_30ELb0EEvPKcS2_S2_S2_S2_PKiPfP15HIP_vector_typeIfLj2EEffffjfiS6_IjLj3EEiiiiiiiiiiiliiliiiiil ; -- Begin function _ZL18flash_attn_ext_vecILi64ELi1EL9ggml_type3ELS0_30ELb0EEvPKcS2_S2_S2_S2_PKiPfP15HIP_vector_typeIfLj2EEffffjfiS6_IjLj3EEiiiiiiiiiiiliiliiiiil
	.p2align	8
	.type	_ZL18flash_attn_ext_vecILi64ELi1EL9ggml_type3ELS0_30ELb0EEvPKcS2_S2_S2_S2_PKiPfP15HIP_vector_typeIfLj2EEffffjfiS6_IjLj3EEiiiiiiiiiiiliiliiiiil,@function
_ZL18flash_attn_ext_vecILi64ELi1EL9ggml_type3ELS0_30ELb0EEvPKcS2_S2_S2_S2_PKiPfP15HIP_vector_typeIfLj2EEffffjfiS6_IjLj3EEiiiiiiiiiiiliiliiiiil: ; @_ZL18flash_attn_ext_vecILi64ELi1EL9ggml_type3ELS0_30ELb0EEvPKcS2_S2_S2_S2_PKiPfP15HIP_vector_typeIfLj2EEffffjfiS6_IjLj3EEiiiiiiiiiiiliiliiiiil
; %bb.0:
	s_load_dwordx2 s[34:35], s[0:1], 0x64
	s_load_dwordx2 s[42:43], s[0:1], 0x80
	;; [unrolled: 1-line block ×3, first 2 shown]
	v_mov_b32_e32 v59, 1.0
	s_waitcnt lgkmcnt(0)
	v_cvt_f32_u32_e32 v1, s35
	s_sub_i32 s5, 0, s35
	v_rcp_iflag_f32_e32 v1, v1
	s_nop 0
	v_mul_f32_e32 v1, 0x4f7ffffe, v1
	v_cvt_u32_f32_e32 v1, v1
	s_nop 0
	v_readfirstlane_b32 s6, v1
	s_mul_i32 s5, s5, s6
	s_mul_hi_u32 s5, s6, s5
	s_add_i32 s6, s6, s5
	s_mul_hi_u32 s5, s4, s6
	s_mul_i32 s6, s5, s35
	s_sub_i32 s6, s4, s6
	s_add_i32 s7, s5, 1
	s_sub_i32 s8, s6, s35
	s_cmp_ge_u32 s6, s35
	s_cselect_b32 s5, s7, s5
	s_cselect_b32 s6, s8, s6
	s_add_i32 s7, s5, 1
	s_cmp_ge_u32 s6, s35
	s_cselect_b32 s33, s7, s5
	s_abs_i32 s6, s43
	v_cvt_f32_u32_e32 v1, s6
	s_mul_i32 s15, s33, s35
	s_sub_i32 s16, 0, s6
	s_sub_i32 s40, s4, s15
	v_rcp_iflag_f32_e32 v1, v1
	s_abs_i32 s14, s35
	s_xor_b32 s7, s35, s43
	s_ashr_i32 s7, s7, 31
	v_mul_f32_e32 v1, 0x4f7ffffe, v1
	v_cvt_u32_f32_e32 v1, v1
	s_load_dwordx4 s[8:11], s[0:1], 0x40
	s_load_dword s5, s[0:1], 0x50
	v_readfirstlane_b32 s4, v1
	s_mul_i32 s16, s16, s4
	s_mul_hi_u32 s15, s4, s16
	s_add_i32 s4, s4, s15
	s_mul_hi_u32 s4, s14, s4
	s_mul_i32 s15, s4, s6
	s_sub_i32 s14, s14, s15
	s_add_i32 s16, s4, 1
	s_sub_i32 s15, s14, s6
	s_cmp_ge_u32 s14, s6
	s_cselect_b32 s4, s16, s4
	s_cselect_b32 s14, s15, s14
	s_add_i32 s15, s4, 1
	s_cmp_ge_u32 s14, s6
	s_cselect_b32 s4, s15, s4
	s_xor_b32 s4, s4, s7
	s_sub_i32 s36, s4, s7
	s_abs_i32 s44, s36
	s_abs_i32 s12, s12
	v_cvt_f32_u32_e32 v2, s44
	v_cvt_f32_u32_e32 v1, s12
	s_sub_i32 s6, 0, s44
	s_sub_i32 s4, 0, s12
	v_rcp_iflag_f32_e32 v2, v2
	v_rcp_iflag_f32_e32 v1, v1
	s_abs_i32 s45, s40
	s_abs_i32 s43, s33
	v_mul_f32_e32 v2, 0x4f7ffffe, v2
	v_mul_f32_e32 v1, 0x4f7ffffe, v1
	v_cvt_u32_f32_e32 v2, v2
	v_cvt_u32_f32_e32 v1, v1
	v_readfirstlane_b32 s14, v2
	v_readfirstlane_b32 s15, v1
	s_mul_i32 s6, s6, s14
	s_mul_i32 s4, s4, s15
	s_mul_hi_u32 s6, s14, s6
	s_add_i32 s14, s14, s6
	s_mul_hi_u32 s4, s15, s4
	s_waitcnt lgkmcnt(0)
	v_cmp_le_f32_e64 s[6:7], s9, 0
	s_add_i32 s15, s15, s4
	s_and_b64 vcc, exec, s[6:7]
	s_cbranch_vccnz .LBB0_2
; %bb.1:
	v_mov_b32_e32 v1, s5
	v_sub_co_u32_e32 v1, vcc, s40, v1
	v_mov_b32_e32 v2, s11
	v_mov_b32_e32 v3, s10
	s_add_i32 s4, s40, 1
	v_lshlrev_b32_e32 v1, 1, v1
	v_cndmask_b32_e32 v2, v2, v3, vcc
	v_or_b32_e32 v1, 1, v1
	v_mov_b32_e32 v3, s4
	v_cndmask_b32_e32 v1, v1, v3, vcc
	v_cvt_f32_i32_e32 v1, v1
	v_cmp_neq_f32_e32 vcc, 1.0, v2
	s_mov_b32 s4, 0x3f2aaaab
	s_movk_i32 s6, 0x204
	v_cndmask_b32_e32 v1, 1.0, v1, vcc
	v_cmp_neq_f32_e32 vcc, 0, v1
	s_mov_b32 s5, 0x42b17218
	s_mov_b32 s7, 0x3fb8aa3b
	v_cndmask_b32_e32 v18, 1.0, v2, vcc
	v_frexp_mant_f32_e64 v2, |v18|
	v_cmp_gt_f32_e32 vcc, s4, v2
	s_mov_b32 s4, 0x3f317218
	s_brev_b32 s9, -2
	v_cndmask_b32_e64 v3, 1.0, 2.0, vcc
	v_mul_f32_e32 v2, v2, v3
	v_add_f32_e32 v5, 1.0, v2
	v_rcp_f32_e32 v10, v5
	v_add_f32_e32 v3, -1.0, v5
	v_sub_f32_e32 v7, v2, v3
	v_add_f32_e32 v3, -1.0, v2
	v_mul_f32_e32 v11, v3, v10
	v_mul_f32_e32 v4, v5, v11
	v_fma_f32 v6, v11, v5, -v4
	v_fmac_f32_e32 v6, v11, v7
	v_add_f32_e32 v2, v4, v6
	v_sub_f32_e32 v5, v3, v2
	v_pk_add_f32 v[8:9], v[2:3], v[4:5] neg_lo:[0,1] neg_hi:[0,1]
	v_mov_b32_e32 v7, v2
	v_pk_add_f32 v[2:3], v[8:9], v[6:7] neg_lo:[0,1] neg_hi:[0,1]
	v_mov_b32_e32 v6, 0x3e91f4c4
	v_add_f32_e32 v2, v2, v3
	v_add_f32_e32 v2, v5, v2
	v_mul_f32_e32 v3, v10, v2
	v_add_f32_e32 v2, v11, v3
	v_sub_f32_e32 v4, v2, v11
	v_sub_f32_e32 v12, v3, v4
	v_mul_f32_e32 v3, v2, v2
	v_fma_f32 v5, v2, v2, -v3
	v_add_f32_e32 v4, v12, v12
	v_fmac_f32_e32 v5, v2, v4
	v_add_f32_e32 v4, v3, v5
	v_fmac_f32_e32 v6, 0x3e76c4e1, v4
	v_fmaak_f32 v6, v4, v6, 0x3ecccdef
	v_sub_f32_e32 v3, v4, v3
	v_sub_f32_e32 v13, v5, v3
	v_mul_f32_e32 v3, v4, v6
	v_fma_f32 v5, v4, v6, -v3
	v_fmac_f32_e32 v5, v13, v6
	v_add_f32_e32 v6, v3, v5
	v_add_f32_e32 v7, 0x3f2aaaaa, v6
	v_sub_f32_e32 v3, v6, v3
	v_sub_f32_e32 v3, v5, v3
	v_add_f32_e32 v5, 0xbf2aaaaa, v7
	v_add_f32_e32 v3, 0x31739010, v3
	v_sub_f32_e32 v5, v6, v5
	v_pk_mul_f32 v[8:9], v[2:3], v[4:5]
	v_pk_add_f32 v[10:11], v[2:3], v[4:5]
	v_fma_f32 v6, v4, v2, -v8
	v_fmac_f32_e32 v6, v4, v12
	v_mov_b32_e32 v9, v11
	v_fmac_f32_e32 v6, v13, v2
	v_pk_add_f32 v[4:5], v[8:9], v[6:7]
	v_ldexp_f32 v14, v12, 1
	v_sub_f32_e32 v3, v4, v8
	v_sub_f32_e32 v3, v6, v3
	;; [unrolled: 1-line block ×3, first 2 shown]
	v_add_f32_e32 v9, v11, v6
	v_pk_mul_f32 v[6:7], v[4:5], v[4:5] op_sel:[0,1] op_sel_hi:[1,0]
	v_cvt_f64_f32_e64 v[10:11], |v18|
	v_frexp_exp_i32_f64_e32 v7, v[10:11]
	v_subbrev_co_u32_e32 v7, vcc, 0, v7, vcc
	v_cvt_f32_i32_e32 v7, v7
	v_fma_f32 v8, v4, v5, -v6
	v_fmac_f32_e32 v8, v4, v9
	v_fmac_f32_e32 v8, v3, v5
	v_mul_f32_e32 v4, 0x3f317218, v7
	v_fma_f32 v3, v7, s4, -v4
	v_fmamk_f32 v10, v7, 0xb102e308, v3
	v_ldexp_f32 v11, v2, 1
	v_add_f32_e32 v5, v6, v8
	v_pk_add_f32 v[2:3], v[4:5], v[10:11]
	v_mov_b32_e32 v12, v5
	v_mov_b32_e32 v13, v3
	;; [unrolled: 1-line block ×3, first 2 shown]
	v_pk_add_f32 v[6:7], v[12:13], v[6:7] neg_lo:[0,1] neg_hi:[0,1]
	v_mov_b32_e32 v9, v5
	v_pk_add_f32 v[6:7], v[8:9], v[6:7] neg_lo:[0,1] neg_hi:[0,1]
	v_mov_b32_e32 v11, v2
	v_add_f32_e32 v5, v14, v6
	v_add_f32_e32 v5, v5, v7
	v_pk_add_f32 v[6:7], v[2:3], v[4:5] neg_lo:[0,1] neg_hi:[0,1]
	v_pk_add_f32 v[8:9], v[2:3], v[4:5]
	v_mov_b32_e32 v16, v3
	v_mov_b32_e32 v7, v9
	v_pk_add_f32 v[12:13], v[10:11], v[6:7] neg_lo:[0,1] neg_hi:[0,1]
	v_pk_add_f32 v[6:7], v[10:11], v[6:7]
	v_mov_b32_e32 v4, v5
	v_pk_add_f32 v[10:11], v[6:7], v[2:3] op_sel:[1,0] op_sel_hi:[0,1] neg_lo:[0,1] neg_hi:[0,1]
	v_pk_add_f32 v[14:15], v[8:9], v[10:11] op_sel_hi:[1,0] neg_lo:[0,1] neg_hi:[0,1]
	v_mov_b32_e32 v8, v9
	v_mov_b32_e32 v9, v7
	;; [unrolled: 1-line block ×3, first 2 shown]
	v_pk_add_f32 v[8:9], v[8:9], v[16:17] neg_lo:[0,1] neg_hi:[0,1]
	v_mov_b32_e32 v5, v2
	v_pk_add_f32 v[2:3], v[4:5], v[8:9] neg_lo:[0,1] neg_hi:[0,1]
	v_mov_b32_e32 v14, v12
	v_pk_add_f32 v[4:5], v[14:15], v[2:3]
	v_mov_b32_e32 v13, v7
	v_pk_add_f32 v[8:9], v[4:5], v[4:5] op_sel:[0,1] op_sel_hi:[1,0]
	s_mov_b32 s4, 0x7f800000
	v_pk_add_f32 v[6:7], v[6:7], v[8:9] op_sel:[1,0] op_sel_hi:[0,1]
	v_mov_b32_e32 v5, v6
	v_pk_add_f32 v[10:11], v[4:5], v[12:13] neg_lo:[0,1] neg_hi:[0,1]
	v_mov_b32_e32 v3, v8
	v_sub_f32_e32 v4, v4, v10
	v_pk_add_f32 v[2:3], v[2:3], v[10:11] neg_lo:[0,1] neg_hi:[0,1]
	v_sub_f32_e32 v4, v12, v4
	v_add_f32_e32 v2, v2, v4
	v_add_f32_e32 v2, v2, v3
	;; [unrolled: 1-line block ×3, first 2 shown]
	v_sub_f32_e32 v4, v3, v6
	v_sub_f32_e32 v2, v2, v4
	v_mul_f32_e32 v4, v1, v3
	v_fma_f32 v3, v1, v3, -v4
	v_fmac_f32_e32 v3, v1, v2
	v_add_f32_e32 v2, v4, v3
	v_cmp_class_f32_e64 vcc, v4, s6
	v_sub_f32_e32 v5, v2, v4
	v_sub_f32_e32 v3, v3, v5
	v_cndmask_b32_e32 v2, v2, v4, vcc
	v_mov_b32_e32 v4, 0x37000000
	v_cmp_eq_f32_e32 vcc, s5, v2
	v_cmp_class_f32_e64 s[10:11], v18, s6
	s_nop 0
	v_cndmask_b32_e32 v4, 0, v4, vcc
	v_sub_f32_e32 v5, v2, v4
	v_mul_f32_e32 v6, 0x3fb8aa3b, v5
	v_fma_f32 v7, v5, s7, -v6
	v_rndne_f32_e32 v8, v6
	v_fmamk_f32 v7, v5, 0x32a5705f, v7
	v_sub_f32_e32 v6, v6, v8
	v_add_f32_e32 v6, v6, v7
	v_exp_f32_e32 v6, v6
	v_cvt_i32_f32_e32 v7, v8
	v_cmp_neq_f32_e64 vcc, |v2|, s4
	s_mov_b32 s4, 0xc2ce8ed0
	s_nop 0
	v_cndmask_b32_e32 v2, 0, v3, vcc
	v_ldexp_f32 v3, v6, v7
	v_cmp_ngt_f32_e32 vcc, s4, v5
	v_add_f32_e32 v2, v4, v2
	v_mov_b32_e32 v4, 0x7f800000
	v_cndmask_b32_e32 v3, 0, v3, vcc
	v_cmp_nlt_f32_e32 vcc, s5, v5
	v_mov_b32_e32 v5, 0x7fc00000
	s_nop 0
	v_cndmask_b32_e32 v3, v4, v3, vcc
	v_fma_f32 v2, v3, v2, v3
	v_cmp_class_f32_e64 vcc, v3, s6
	v_cmp_gt_f32_e64 s[6:7], 0, v1
	s_nop 0
	v_cndmask_b32_e32 v2, v2, v3, vcc
	v_trunc_f32_e32 v3, v1
	v_cmp_eq_f32_e32 vcc, v3, v1
	v_mul_f32_e32 v3, 0.5, v1
	v_trunc_f32_e32 v6, v3
	v_cmp_neq_f32_e64 s[4:5], v6, v3
	s_and_b64 s[4:5], vcc, s[4:5]
	s_nop 0
	v_cndmask_b32_e64 v3, 1.0, v18, s[4:5]
	v_bfi_b32 v2, s9, v2, v3
	v_cndmask_b32_e32 v3, v5, v2, vcc
	v_cmp_gt_f32_e32 vcc, 0, v18
	s_nop 1
	v_cndmask_b32_e32 v2, v2, v3, vcc
	v_cmp_eq_f32_e32 vcc, 0, v18
	s_xor_b64 s[6:7], s[6:7], vcc
	v_cndmask_b32_e64 v1, v4, 0, s[6:7]
	v_cndmask_b32_e64 v3, 0, v18, s[4:5]
	v_bfi_b32 v1, s9, v1, v3
	s_or_b64 vcc, vcc, s[10:11]
	v_cndmask_b32_e32 v1, v2, v1, vcc
	v_cmp_o_f32_e32 vcc, v18, v18
	s_nop 1
	v_cndmask_b32_e32 v59, v5, v1, vcc
.LBB0_2:
	s_load_dwordx16 s[16:31], s[0:1], 0x0
	v_bfe_u32 v56, v0, 10, 10
	v_and_b32_e32 v57, 0x3ff, v0
	s_mul_hi_u32 s10, s45, s14
	s_mul_hi_u32 s9, s43, s15
	v_cmp_eq_u32_e64 s[14:15], 0, v56
	v_lshlrev_b32_e32 v16, 4, v57
	s_and_saveexec_b64 s[4:5], s[14:15]
	s_cbranch_execz .LBB0_15
; %bb.3:
	s_load_dwordx4 s[48:51], s[0:1], 0x70
	v_mov_b32_e32 v17, 0
	v_cmp_gt_u32_e32 vcc, 16, v57
	v_mov_b32_e32 v4, 0
	s_waitcnt lgkmcnt(0)
	s_mul_i32 s6, s33, s50
	s_mul_i32 s11, s48, s2
	;; [unrolled: 1-line block ×3, first 2 shown]
	s_add_i32 s6, s6, s11
	s_add_i32 s6, s6, s7
	s_ashr_i32 s7, s6, 31
	s_add_u32 s6, s16, s6
	s_addc_u32 s7, s17, s7
	v_lshl_add_u64 v[0:1], s[6:7], 0, v[16:17]
	s_and_saveexec_b64 s[6:7], vcc
	s_cbranch_execz .LBB0_5
; %bb.4:
	global_load_dword v2, v[0:1], off
	s_waitcnt vmcnt(0)
	v_mul_f32_e32 v4, s8, v2
.LBB0_5:
	s_or_b64 exec, exec, s[6:7]
	s_and_saveexec_b64 s[6:7], vcc
	s_cbranch_execz .LBB0_7
; %bb.6:
	global_load_dword v2, v[0:1], off offset:4
	s_waitcnt vmcnt(0)
	v_mul_f32_e32 v17, s8, v2
.LBB0_7:
	s_or_b64 exec, exec, s[6:7]
	v_mov_b32_e32 v2, 0
	v_mov_b32_e32 v3, 0
	s_and_saveexec_b64 s[6:7], vcc
	s_cbranch_execz .LBB0_9
; %bb.8:
	global_load_dword v3, v[0:1], off offset:8
	s_waitcnt vmcnt(0)
	v_mul_f32_e32 v3, s8, v3
.LBB0_9:
	s_or_b64 exec, exec, s[6:7]
	s_and_saveexec_b64 s[6:7], vcc
	s_cbranch_execz .LBB0_11
; %bb.10:
	global_load_dword v0, v[0:1], off offset:12
	s_waitcnt vmcnt(0)
	v_mul_f32_e32 v2, s8, v0
.LBB0_11:
	s_or_b64 exec, exec, s[6:7]
	v_mbcnt_lo_u32_b32 v0, -1, 0
	v_mbcnt_hi_u32_b32 v0, -1, v0
	v_and_b32_e32 v1, 0x60, v0
	v_add_u32_e32 v1, 32, v1
	v_xor_b32_e32 v5, 4, v0
	v_cmp_lt_i32_e32 vcc, v5, v1
	v_max_f32_e64 v7, |v17|, |v17|
	v_max_f32_e64 v8, |v4|, |v4|
	v_cndmask_b32_e32 v5, v0, v5, vcc
	v_max_f32_e32 v7, v8, v7
	v_lshlrev_b32_e32 v5, 2, v5
	v_max3_f32 v7, v7, |v3|, |v2|
	ds_bpermute_b32 v8, v5, v7
	v_xor_b32_e32 v6, 2, v0
	v_cmp_lt_i32_e32 vcc, v6, v1
	v_xor_b32_e32 v9, 1, v0
	s_mov_b32 s8, 0x42fe0000
	v_cndmask_b32_e32 v6, v0, v6, vcc
	v_cmp_lt_i32_e32 vcc, v9, v1
	s_waitcnt lgkmcnt(0)
	v_max_f32_e32 v1, v8, v8
	v_lshlrev_b32_e32 v6, 2, v6
	v_max_f32_e32 v1, v7, v1
	ds_bpermute_b32 v7, v6, v1
	v_add_f32_e32 v8, v4, v17
	v_add_f32_e32 v8, v8, v3
	v_cndmask_b32_e32 v0, v0, v9, vcc
	v_add_f32_e32 v8, v8, v2
	s_waitcnt lgkmcnt(0)
	v_max_f32_e32 v7, v7, v7
	v_lshlrev_b32_e32 v0, 2, v0
	ds_bpermute_b32 v5, v5, v8
	v_max_f32_e32 v1, v1, v7
	ds_bpermute_b32 v7, v0, v1
	s_waitcnt lgkmcnt(1)
	v_add_f32_e32 v5, v8, v5
	ds_bpermute_b32 v8, v6, v5
	s_waitcnt lgkmcnt(1)
	v_max_f32_e32 v6, v7, v7
	v_max_f32_e32 v7, v1, v6
	v_div_scale_f32 v9, s[6:7], s8, s8, v7
	v_rcp_f32_e32 v10, v9
	s_waitcnt lgkmcnt(0)
	v_add_f32_e32 v1, v5, v8
	ds_bpermute_b32 v5, v0, v1
	v_mov_b32_e32 v6, 0
	v_fma_f32 v0, -v9, v10, 1.0
	v_fmac_f32_e32 v10, v0, v10
	v_div_scale_f32 v0, vcc, v7, s8, v7
	v_mul_f32_e32 v8, v0, v10
	v_fma_f32 v11, -v9, v8, v0
	v_fmac_f32_e32 v8, v11, v10
	v_fma_f32 v0, -v9, v8, v0
	v_div_fmas_f32 v0, v0, v10, v8
	v_div_fixup_f32 v0, v0, s8, v7
	v_cmp_neq_f32_e32 vcc, 0, v0
	s_and_saveexec_b64 s[6:7], vcc
	s_cbranch_execz .LBB0_13
; %bb.12:
	v_div_scale_f32 v6, s[16:17], v0, v0, v4
	v_rcp_f32_e32 v7, v6
	v_div_scale_f32 v8, vcc, v4, v0, v4
	s_brev_b32 s8, -2
	v_fma_f32 v9, -v6, v7, 1.0
	v_fmac_f32_e32 v7, v9, v7
	v_mul_f32_e32 v9, v8, v7
	v_fma_f32 v10, -v6, v9, v8
	v_fmac_f32_e32 v9, v10, v7
	v_fma_f32 v6, -v6, v9, v8
	v_div_fmas_f32 v6, v6, v7, v9
	v_div_fixup_f32 v4, v6, v0, v4
	v_trunc_f32_e32 v6, v4
	v_sub_f32_e32 v7, v4, v6
	v_cmp_ge_f32_e64 s[16:17], |v7|, 0.5
	s_nop 1
	v_cndmask_b32_e64 v7, 0, 1.0, s[16:17]
	v_div_scale_f32 v8, s[16:17], v0, v0, v17
	v_rcp_f32_e32 v9, v8
	v_bfi_b32 v4, s8, v7, v4
	v_add_f32_e32 v4, v6, v4
	v_cvt_i32_f32_e32 v4, v4
	v_fma_f32 v6, -v8, v9, 1.0
	v_fmac_f32_e32 v9, v6, v9
	v_div_scale_f32 v6, vcc, v17, v0, v17
	v_mul_f32_e32 v7, v6, v9
	v_fma_f32 v10, -v8, v7, v6
	v_fmac_f32_e32 v7, v10, v9
	v_fma_f32 v6, -v8, v7, v6
	v_div_fmas_f32 v6, v6, v9, v7
	v_div_fixup_f32 v6, v6, v0, v17
	v_trunc_f32_e32 v7, v6
	v_div_scale_f32 v9, s[16:17], v0, v0, v3
	v_sub_f32_e32 v8, v6, v7
	v_rcp_f32_e32 v10, v9
	v_cmp_ge_f32_e64 s[16:17], |v8|, 0.5
	v_and_b32_e32 v4, 0xff, v4
	s_nop 0
	v_cndmask_b32_e64 v8, 0, 1.0, s[16:17]
	v_bfi_b32 v6, s8, v8, v6
	v_add_f32_e32 v6, v7, v6
	v_fma_f32 v7, -v9, v10, 1.0
	v_fmac_f32_e32 v10, v7, v10
	v_div_scale_f32 v7, vcc, v3, v0, v3
	v_mul_f32_e32 v8, v7, v10
	v_fma_f32 v11, -v9, v8, v7
	v_fmac_f32_e32 v8, v11, v10
	v_fma_f32 v7, -v9, v8, v7
	v_div_fmas_f32 v7, v7, v10, v8
	v_div_fixup_f32 v3, v7, v0, v3
	v_trunc_f32_e32 v7, v3
	v_sub_f32_e32 v8, v3, v7
	v_cmp_ge_f32_e64 s[16:17], |v8|, 0.5
	v_cvt_i32_f32_e32 v6, v6
	s_nop 0
	v_cndmask_b32_e64 v8, 0, 1.0, s[16:17]
	v_div_scale_f32 v9, s[16:17], v0, v0, v2
	v_rcp_f32_e32 v10, v9
	v_bfi_b32 v3, s8, v8, v3
	v_add_f32_e32 v3, v7, v3
	v_cvt_i32_f32_e32 v3, v3
	v_fma_f32 v7, -v9, v10, 1.0
	v_fmac_f32_e32 v10, v7, v10
	v_div_scale_f32 v7, vcc, v2, v0, v2
	v_mul_f32_e32 v8, v7, v10
	v_fma_f32 v11, -v9, v8, v7
	v_fmac_f32_e32 v8, v11, v10
	v_fma_f32 v7, -v9, v8, v7
	v_div_fmas_f32 v7, v7, v10, v8
	v_div_fixup_f32 v2, v7, v0, v2
	v_trunc_f32_e32 v7, v2
	v_sub_f32_e32 v8, v2, v7
	v_cmp_ge_f32_e64 s[16:17], |v8|, 0.5
	v_and_b32_e32 v3, 0xff, v3
	v_lshlrev_b32_e32 v3, 16, v3
	v_cndmask_b32_e64 v8, 0, 1.0, s[16:17]
	v_bfi_b32 v2, s8, v8, v2
	v_add_f32_e32 v2, v7, v2
	v_cvt_i32_f32_e32 v2, v2
	v_lshl_or_b32 v2, v2, 24, v3
	v_mov_b32_e32 v3, 8
	v_lshlrev_b32_sdwa v3, v3, v6 dst_sel:DWORD dst_unused:UNUSED_PAD src0_sel:DWORD src1_sel:BYTE_0
	v_or3_b32 v6, v2, v3, v4
.LBB0_13:
	s_or_b64 exec, exec, s[6:7]
	v_and_b32_e32 v3, 0x77, v57
	v_lshlrev_b32_e32 v2, 2, v57
	v_cmp_eq_u32_e32 vcc, 0, v3
	ds_write_b32 v2, v6
	s_and_b64 exec, exec, vcc
	s_cbranch_execz .LBB0_15
; %bb.14:
	s_waitcnt lgkmcnt(1)
	v_add_f32_e32 v1, v1, v5
	ds_write_b64 v57, v[0:1] offset:64
.LBB0_15:
	s_or_b64 exec, exec, s[4:5]
	v_and_b32_e32 v4, 3, v57
	v_lshlrev_b32_e32 v0, 2, v4
	v_mov_b32_e32 v62, 0
	s_waitcnt lgkmcnt(0)
	s_barrier
	ds_read2_b32 v[18:19], v0 offset1:4
	ds_read2_b32 v[20:21], v0 offset0:8 offset1:12
	ds_read_b128 v[0:3], v62 offset:64
	s_ashr_i32 s41, s40, 31
	s_ashr_i32 s4, s36, 31
	;; [unrolled: 1-line block ×3, first 2 shown]
	s_cmp_eq_u64 s[26:27], 0
	s_waitcnt lgkmcnt(0)
	s_barrier
	s_cbranch_scc1 .LBB0_17
; %bb.16:
	s_load_dword s5, s[0:1], 0xd0
	s_mov_b32 s7, 0
	s_waitcnt lgkmcnt(0)
	s_mul_i32 s5, s5, s33
	s_add_i32 s6, s5, s2
	s_lshl_b64 s[6:7], s[6:7], 2
	s_add_u32 s6, s26, s6
	s_addc_u32 s7, s27, s7
	s_load_dword s42, s[6:7], 0x0
.LBB0_17:
	v_lshlrev_b32_e32 v5, 5, v56
	v_add_u32_e32 v17, v5, v57
	s_lshl_b32 s16, s3, 7
	s_mov_b32 s27, 0
	s_waitcnt lgkmcnt(0)
	s_cmp_ge_i32 s16, s42
	v_lshlrev_b32_e32 v60, 2, v57
	v_mbcnt_lo_u32_b32 v61, -1, 0
	v_lshlrev_b32_e32 v58, 1, v17
	s_cbranch_scc1 .LBB0_29
; %bb.18:
	s_load_dwordx4 s[36:39], s[0:1], 0x98
	s_load_dwordx2 s[60:61], s[0:1], 0x8c
	s_load_dwordx2 s[6:7], s[0:1], 0xc8
	s_xor_b32 s4, s41, s4
	s_mul_i32 s9, s9, s12
	s_waitcnt lgkmcnt(0)
	s_mul_i32 s8, s37, s33
	s_mul_i32 s11, s36, s62
	s_mul_hi_u32 s5, s36, s33
	s_add_i32 s37, s11, s8
	s_add_i32 s63, s37, s5
	s_mul_i32 s5, s10, s44
	s_sub_i32 s5, s45, s5
	s_add_i32 s8, s10, 1
	s_sub_i32 s11, s5, s44
	s_cmp_ge_u32 s5, s44
	s_cselect_b32 s8, s8, s10
	s_cselect_b32 s5, s11, s5
	s_add_i32 s10, s8, 1
	s_cmp_ge_u32 s5, s44
	s_cselect_b32 s5, s10, s8
	s_xor_b32 s5, s5, s4
	s_sub_i32 s4, s5, s4
	s_mul_i32 s56, s4, s61
	s_mul_i32 s54, s4, s39
	s_sub_i32 s4, s43, s9
	s_ashr_i32 s57, s56, 31
	s_ashr_i32 s55, s54, 31
	s_sub_i32 s5, s4, s12
	s_cmp_ge_u32 s4, s12
	s_cselect_b32 s4, s5, s4
	s_sub_i32 s5, s4, s12
	s_cmp_ge_u32 s4, s12
	v_and_b32_e32 v6, 0x7c, v57
	v_mbcnt_hi_u32_b32 v22, -1, v61
	s_cselect_b32 s4, s5, s4
	v_add_u32_e32 v28, v5, v6
	v_and_b32_e32 v6, 0x7c, v22
	s_xor_b32 s4, s4, s62
	v_add_u32_e32 v6, 4, v6
	v_xor_b32_e32 v7, 2, v22
	s_sub_i32 s4, s4, s62
	v_cmp_lt_i32_e32 vcc, v7, v6
	s_ashr_i32 s5, s4, 31
	s_load_dwordx2 s[58:59], s[0:1], 0xa8
	s_load_dword s8, s[0:1], 0xd4
	v_cndmask_b32_e32 v7, v22, v7, vcc
	s_mul_i32 s5, s6, s5
	s_mul_hi_u32 s9, s6, s4
	v_lshlrev_b32_e32 v63, 2, v7
	v_xor_b32_e32 v7, 1, v22
	s_add_i32 s5, s9, s5
	s_mul_i32 s7, s7, s4
	s_mul_i32 s65, s13, s2
	v_cmp_lt_i32_e32 vcc, v7, v6
	s_add_i32 s39, s5, s7
	s_ashr_i32 s66, s65, 31
	v_cndmask_b32_e32 v6, v22, v7, vcc
	v_lshlrev_b32_e32 v64, 2, v6
	s_cmp_lg_u64 s[22:23], 0
	v_and_b32_e32 v6, 0x60, v22
	s_mul_i32 s43, s6, s4
	s_cselect_b64 s[46:47], -1, 0
	v_add_u32_e32 v23, 32, v6
	s_waitcnt lgkmcnt(0)
	s_lshl_b32 s48, s8, 7
	v_cmp_eq_u32_e64 s[4:5], 3, v4
	v_cmp_eq_u32_e64 s[6:7], 0, v4
	;; [unrolled: 1-line block ×4, first 2 shown]
	v_xor_b32_e32 v4, 4, v22
	v_cmp_lt_i32_e32 vcc, v4, v23
	v_lshrrev_b32_e32 v24, 3, v57
	v_and_b32_e32 v12, 12, v60
	v_cndmask_b32_e32 v4, v22, v4, vcc
	v_lshlrev_b32_e32 v65, 2, v4
	v_xor_b32_e32 v4, 8, v22
	v_cmp_lt_i32_e32 vcc, v4, v23
	v_mov_b32_e32 v13, 0
	v_mov_b32_e32 v40, s33
	v_cndmask_b32_e32 v4, v22, v4, vcc
	v_lshlrev_b32_e32 v66, 2, v4
	v_xor_b32_e32 v4, 16, v22
	v_cmp_lt_i32_e32 vcc, v4, v23
	v_add_u32_e32 v54, v5, v24
	v_mul_lo_u32 v6, v28, s60
	v_cndmask_b32_e32 v4, v22, v4, vcc
	v_lshlrev_b32_e32 v67, 2, v4
	v_or_b32_e32 v4, v5, v24
	v_lshlrev_b32_e32 v68, 1, v4
	v_mad_u64_u32 v[4:5], s[12:13], s36, v40, v[12:13]
	s_add_u32 s12, s18, s56
	s_mul_i32 s64, s36, s33
	v_add_u32_e32 v8, s60, v6
	s_addc_u32 s13, s19, s57
	s_mov_b32 s17, s27
	v_add_u32_e32 v10, s60, v8
	s_add_u32 s36, s12, s64
	s_mul_i32 s44, s60, s16
	s_mul_i32 s50, s48, s60
	v_add_u32_e32 v14, s60, v10
	v_add_u32_e32 v5, s37, v5
	s_addc_u32 s37, s13, s63
	s_lshl_b64 s[60:61], s[16:17], 1
	s_add_u32 s17, s43, s60
	s_addc_u32 s39, s39, s61
	s_add_u32 s22, s22, s65
	s_addc_u32 s23, s23, s66
	v_ashrrev_i32_e32 v11, 31, v10
	v_ashrrev_i32_e32 v15, 31, v14
	s_add_u32 s22, s22, s17
	s_mov_b32 s49, s27
	v_ashrrev_i32_e32 v9, 31, v8
	v_lshl_add_u64 v[22:23], v[4:5], 0, v[14:15]
	v_lshl_add_u64 v[24:25], s[36:37], 0, v[14:15]
	;; [unrolled: 1-line block ×3, first 2 shown]
	v_lshlrev_b32_e32 v12, 1, v28
	s_addc_u32 s23, s23, s39
	v_lshl_add_u64 v[26:27], s[12:13], 0, v[14:15]
	v_lshl_add_u64 v[14:15], s[22:23], 0, v[12:13]
	s_lshl_b64 s[22:23], s[48:49], 1
	v_lshl_add_u64 v[30:31], s[36:37], 0, v[10:11]
	v_lshl_add_u64 v[10:11], v[4:5], 0, v[8:9]
	;; [unrolled: 1-line block ×4, first 2 shown]
	s_add_u32 s12, s64, s56
	s_addc_u32 s13, s63, s57
	v_ashrrev_i32_e32 v7, 31, v6
	v_lshl_add_u64 v[4:5], v[4:5], 0, s[56:57]
	s_add_u32 s12, s18, s12
	v_lshl_add_u64 v[4:5], v[4:5], 0, v[6:7]
	s_addc_u32 s13, s19, s13
	v_lshl_add_u64 v[36:37], s[18:19], 0, v[4:5]
	v_lshl_add_u64 v[4:5], s[12:13], 0, v[6:7]
	;; [unrolled: 1-line block ×3, first 2 shown]
	v_and_b32_e32 v4, 7, v57
	v_lshlrev_b32_e32 v12, 4, v4
	s_mul_i32 s12, s59, s33
	s_mul_i32 s13, s58, s62
	s_add_i32 s17, s13, s12
	v_mad_u64_u32 v[4:5], s[12:13], s58, v40, v[12:13]
	v_lshl_add_u64 v[34:35], s[36:37], 0, v[8:9]
	v_add_u32_e32 v5, s17, v5
	v_mul_lo_u32 v8, s38, v54
	v_lshl_add_u64 v[6:7], v[4:5], 0, s[54:55]
	v_ashrrev_i32_e32 v9, 31, v8
	v_lshl_add_u64 v[6:7], v[6:7], 0, v[8:9]
	v_lshl_add_u64 v[40:41], s[20:21], 0, v[6:7]
	v_add_u32_e32 v6, 28, v54
	v_mul_lo_u32 v6, s38, v6
	v_ashrrev_i32_e32 v7, 31, v6
	s_add_u32 s12, s20, s54
	v_lshl_add_u64 v[6:7], v[4:5], 0, v[6:7]
	s_addc_u32 s13, s21, s55
	v_lshl_add_u64 v[42:43], s[12:13], 0, v[6:7]
	v_add_u32_e32 v6, 4, v54
	v_mul_lo_u32 v6, s38, v6
	v_ashrrev_i32_e32 v7, 31, v6
	v_lshl_add_u64 v[6:7], v[4:5], 0, v[6:7]
	v_lshl_add_u64 v[44:45], s[12:13], 0, v[6:7]
	v_add_u32_e32 v6, 24, v54
	v_mul_lo_u32 v6, s38, v6
	v_ashrrev_i32_e32 v7, 31, v6
	v_lshl_add_u64 v[6:7], v[4:5], 0, v[6:7]
	;; [unrolled: 5-line block ×6, first 2 shown]
	s_mul_i32 s26, s38, s16
	s_mov_b32 s45, s27
	s_mov_b32 s51, s27
	s_mul_i32 s52, s48, s38
	s_mov_b32 s53, s27
	v_lshlrev_b32_e32 v69, 1, v54
	v_lshl_add_u64 v[28:29], v[14:15], 0, 6
	v_lshl_add_u64 v[54:55], s[12:13], 0, v[4:5]
	v_mov_b32_e32 v4, 0xfeffffff
	s_mov_b32 s17, 0x3fb8aa3b
	s_mov_b32 s18, 0xc2ce8ed0
	;; [unrolled: 1-line block ×3, first 2 shown]
	v_mov_b32_e32 v70, 0x7f800000
	v_mov_b32_e32 v12, v13
	;; [unrolled: 1-line block ×5, first 2 shown]
                                        ; implicit-def: $vgpr71
.LBB0_19:                               ; =>This Inner Loop Header: Depth=1
	v_lshl_add_u64 v[8:9], v[36:37], 0, s[44:45]
	v_lshl_add_u64 v[6:7], v[38:39], 0, s[44:45]
	global_load_dword v5, v[8:9], off offset:4
	global_load_dword v10, v[6:7], off offset:-20
	global_load_dword v11, v[8:9], off offset:24
	global_load_dword v72, v[6:7], off
	v_mov_b32_e32 v6, 0
	v_mov_b32_e32 v8, 0
	;; [unrolled: 1-line block ×4, first 2 shown]
	s_and_b64 vcc, exec, s[46:47]
	s_waitcnt vmcnt(3)
	v_and_b32_e32 v7, 0xf0f0f0f, v5
	v_lshrrev_b32_e32 v5, 4, v5
	s_waitcnt vmcnt(2)
	v_cvt_f32_f16_sdwa v75, v10 dst_sel:DWORD dst_unused:UNUSED_PAD src0_sel:WORD_1
	v_and_b32_e32 v5, 0xf0f0f0f, v5
	v_cvt_f32_f16_e32 v74, v10
	s_waitcnt vmcnt(1)
	v_and_b32_e32 v10, 0xf0f0f0f, v11
	s_waitcnt vmcnt(0)
	v_cvt_f32_f16_sdwa v77, v72 dst_sel:DWORD dst_unused:UNUSED_PAD src0_sel:WORD_1
	v_lshrrev_b32_e32 v11, 4, v11
	v_dot4c_i32_i8_e32 v6, v7, v18
	v_dot4c_i32_i8_e32 v8, v5, v19
	;; [unrolled: 1-line block ×3, first 2 shown]
	v_and_b32_e32 v10, 0xf0f0f0f, v11
	v_cvt_f32_i32_e32 v7, v6
	v_cvt_f32_i32_e32 v6, v8
	v_cvt_f32_f16_e32 v76, v72
	v_dot4c_i32_i8_e32 v73, v10, v21
	v_cvt_f32_i32_e32 v9, v9
	v_mul_f32_e32 v5, v1, v75
	v_mul_f32_e32 v10, v0, v74
	v_cvt_f32_i32_e32 v8, v73
	v_mul_f32_e32 v11, v3, v77
	v_mul_f32_e32 v74, 0x3e000000, v5
	v_pk_fma_f32 v[6:7], v[10:11], v[6:7], v[74:75] op_sel_hi:[0,1,0]
	v_mul_f32_e32 v72, v2, v76
	v_mul_f32_e32 v76, 0x3e000000, v11
	v_add_f32_e32 v5, 0, v7
	v_pk_fma_f32 v[8:9], v[72:73], v[8:9], v[76:77] op_sel_hi:[0,1,0]
	v_add_f32_e32 v5, v6, v5
	v_add_f32_e32 v5, v5, v9
	;; [unrolled: 1-line block ×3, first 2 shown]
	ds_bpermute_b32 v6, v63, v5
	s_waitcnt lgkmcnt(0)
	v_add_f32_e32 v5, v5, v6
	ds_bpermute_b32 v6, v64, v5
	s_waitcnt lgkmcnt(0)
	v_add_f32_e32 v5, v5, v6
	s_cbranch_vccz .LBB0_21
; %bb.20:                               ;   in Loop: Header=BB0_19 Depth=1
	global_load_ushort v6, v[28:29], off offset:-6
	s_waitcnt vmcnt(0)
	v_fma_mix_f32 v5, v59, v6, v5 op_sel_hi:[0,1,0]
.LBB0_21:                               ;   in Loop: Header=BB0_19 Depth=1
	v_lshl_add_u64 v[8:9], v[32:33], 0, s[44:45]
	v_lshl_add_u64 v[6:7], v[34:35], 0, s[44:45]
	global_load_dword v10, v[8:9], off offset:4
	global_load_dword v11, v[6:7], off
	global_load_dword v72, v[8:9], off offset:24
	global_load_dword v73, v[6:7], off offset:20
	v_mov_b32_e32 v6, 0
	v_mov_b32_e32 v8, 0
	;; [unrolled: 1-line block ×4, first 2 shown]
	s_andn2_b64 vcc, exec, s[46:47]
	s_waitcnt vmcnt(3)
	v_and_b32_e32 v7, 0xf0f0f0f, v10
	v_lshrrev_b32_e32 v10, 4, v10
	s_waitcnt vmcnt(2)
	v_cvt_f32_f16_e32 v75, v11
	v_cvt_f32_f16_sdwa v11, v11 dst_sel:DWORD dst_unused:UNUSED_PAD src0_sel:WORD_1
	v_dot4c_i32_i8_e32 v6, v7, v18
	v_and_b32_e32 v7, 0xf0f0f0f, v10
	s_waitcnt vmcnt(1)
	v_and_b32_e32 v76, 0xf0f0f0f, v72
	v_lshrrev_b32_e32 v72, 4, v72
	v_dot4c_i32_i8_e32 v8, v7, v19
	s_waitcnt vmcnt(0)
	v_cvt_f32_f16_e32 v77, v73
	v_cvt_f32_f16_sdwa v73, v73 dst_sel:DWORD dst_unused:UNUSED_PAD src0_sel:WORD_1
	v_and_b32_e32 v10, 0xf0f0f0f, v72
	v_cvt_f32_i32_e32 v7, v6
	v_cvt_f32_i32_e32 v6, v8
	v_dot4c_i32_i8_e32 v9, v76, v20
	v_dot4c_i32_i8_e32 v74, v10, v21
	v_mul_f32_e32 v11, v1, v11
	v_mul_f32_e32 v10, v0, v75
	v_cvt_f32_i32_e32 v9, v9
	v_cvt_f32_i32_e32 v8, v74
	v_mul_f32_e32 v74, 0x3e000000, v11
	v_mul_f32_e32 v73, v3, v73
	v_pk_fma_f32 v[6:7], v[10:11], v[6:7], v[74:75] op_sel_hi:[0,1,0]
	v_mul_f32_e32 v72, v2, v77
	v_mul_f32_e32 v76, 0x3e000000, v73
	v_add_f32_e32 v7, 0, v7
	v_add_f32_e32 v10, v6, v7
	v_pk_fma_f32 v[6:7], v[72:73], v[8:9], v[76:77] op_sel_hi:[0,1,0]
	v_add_f32_e32 v7, v10, v7
	v_add_f32_e32 v6, v6, v7
	ds_bpermute_b32 v7, v63, v6
	v_cndmask_b32_e64 v8, 0, 1, s[46:47]
	v_cmp_ne_u32_e64 s[12:13], 1, v8
	s_waitcnt lgkmcnt(0)
	v_add_f32_e32 v6, v6, v7
	ds_bpermute_b32 v7, v64, v6
	s_waitcnt lgkmcnt(0)
	v_add_f32_e32 v6, v6, v7
	s_cbranch_vccnz .LBB0_23
; %bb.22:                               ;   in Loop: Header=BB0_19 Depth=1
	global_load_ushort v7, v[28:29], off offset:-4
	s_waitcnt vmcnt(0)
	v_fma_mix_f32 v6, v59, v7, v6 op_sel_hi:[0,1,0]
.LBB0_23:                               ;   in Loop: Header=BB0_19 Depth=1
	v_lshl_add_u64 v[10:11], v[26:27], 0, s[44:45]
	v_lshl_add_u64 v[8:9], v[30:31], 0, s[44:45]
	global_load_dword v7, v[10:11], off offset:4
	global_load_dword v72, v[8:9], off
	global_load_dword v73, v[10:11], off offset:24
	global_load_dword v74, v[8:9], off offset:20
	v_mov_b32_e32 v8, 0
	v_mov_b32_e32 v10, 0
	;; [unrolled: 1-line block ×4, first 2 shown]
	s_and_b64 vcc, exec, s[12:13]
	s_waitcnt vmcnt(3)
	v_and_b32_e32 v9, 0xf0f0f0f, v7
	v_lshrrev_b32_e32 v7, 4, v7
	s_waitcnt vmcnt(2)
	v_cvt_f32_f16_sdwa v77, v72 dst_sel:DWORD dst_unused:UNUSED_PAD src0_sel:WORD_1
	v_and_b32_e32 v7, 0xf0f0f0f, v7
	v_cvt_f32_f16_e32 v76, v72
	s_waitcnt vmcnt(1)
	v_and_b32_e32 v72, 0xf0f0f0f, v73
	s_waitcnt vmcnt(0)
	v_cvt_f32_f16_sdwa v79, v74 dst_sel:DWORD dst_unused:UNUSED_PAD src0_sel:WORD_1
	v_lshrrev_b32_e32 v73, 4, v73
	v_dot4c_i32_i8_e32 v8, v9, v18
	v_dot4c_i32_i8_e32 v10, v7, v19
	;; [unrolled: 1-line block ×3, first 2 shown]
	v_and_b32_e32 v72, 0xf0f0f0f, v73
	v_cvt_f32_i32_e32 v9, v8
	v_cvt_f32_i32_e32 v8, v10
	v_cvt_f32_f16_e32 v78, v74
	v_dot4c_i32_i8_e32 v75, v72, v21
	v_cvt_f32_i32_e32 v11, v11
	v_mul_f32_e32 v7, v1, v77
	v_mul_f32_e32 v72, v0, v76
	v_cvt_f32_i32_e32 v10, v75
	v_mul_f32_e32 v73, v3, v79
	v_mul_f32_e32 v76, 0x3e000000, v7
	v_pk_fma_f32 v[8:9], v[72:73], v[8:9], v[76:77] op_sel_hi:[0,1,0]
	v_mul_f32_e32 v74, v2, v78
	v_mul_f32_e32 v78, 0x3e000000, v73
	v_add_f32_e32 v7, 0, v9
	v_add_f32_e32 v7, v8, v7
	v_pk_fma_f32 v[8:9], v[74:75], v[10:11], v[78:79] op_sel_hi:[0,1,0]
	v_add_f32_e32 v7, v7, v9
	v_add_f32_e32 v7, v8, v7
	ds_bpermute_b32 v8, v63, v7
	s_waitcnt lgkmcnt(0)
	v_add_f32_e32 v7, v7, v8
	ds_bpermute_b32 v8, v64, v7
	s_waitcnt lgkmcnt(0)
	v_add_f32_e32 v7, v7, v8
	s_cbranch_vccnz .LBB0_25
; %bb.24:                               ;   in Loop: Header=BB0_19 Depth=1
	global_load_ushort v8, v[28:29], off offset:-2
	s_waitcnt vmcnt(0)
	v_fma_mix_f32 v7, v59, v8, v7 op_sel_hi:[0,1,0]
.LBB0_25:                               ;   in Loop: Header=BB0_19 Depth=1
	v_lshl_add_u64 v[10:11], v[22:23], 0, s[44:45]
	global_load_dword v73, v[10:11], off offset:4
	v_lshl_add_u64 v[8:9], v[24:25], 0, s[44:45]
	v_mov_b32_e32 v75, 0
	global_load_dword v11, v[10:11], off offset:24
	s_and_b64 vcc, exec, s[12:13]
	s_waitcnt vmcnt(1)
	v_and_b32_e32 v72, 0xf0f0f0f, v73
	v_dot4c_i32_i8_e32 v75, v72, v18
	global_load_dword v72, v[8:9], off
	v_lshrrev_b32_e32 v73, 4, v73
	global_load_dword v8, v[8:9], off offset:20
	v_and_b32_e32 v73, 0xf0f0f0f, v73
	v_cvt_f32_i32_e32 v77, v75
	s_waitcnt vmcnt(2)
	v_and_b32_e32 v10, 0xf0f0f0f, v11
	s_waitcnt vmcnt(1)
	v_cvt_f32_f16_e32 v74, v72
	v_cvt_f32_f16_sdwa v76, v72 dst_sel:DWORD dst_unused:UNUSED_PAD src0_sel:WORD_1
	s_waitcnt vmcnt(0)
	v_cvt_f32_f16_e32 v9, v8
	v_mul_f32_e32 v72, v0, v74
	v_mul_f32_e32 v74, v1, v76
	v_mov_b32_e32 v76, 0
	v_dot4c_i32_i8_e32 v76, v73, v19
	v_mul_f32_e32 v74, 0x3e000000, v74
	s_nop 1
	v_cvt_f32_i32_e32 v76, v76
	v_pk_fma_f32 v[72:73], v[72:73], v[76:77], v[74:75] op_sel_hi:[0,1,0]
	v_add_f32_e32 v73, 0, v73
	v_add_f32_e32 v74, v72, v73
	v_mov_b32_e32 v72, 0
	v_dot4c_i32_i8_e32 v72, v10, v20
	v_cvt_f32_f16_sdwa v10, v8 dst_sel:DWORD dst_unused:UNUSED_PAD src0_sel:WORD_1
	v_mul_f32_e32 v8, v2, v9
	v_mul_f32_e32 v9, v3, v10
	;; [unrolled: 1-line block ×3, first 2 shown]
	v_lshrrev_b32_e32 v9, 4, v11
	v_and_b32_e32 v9, 0xf0f0f0f, v9
	v_mov_b32_e32 v11, 0
	v_dot4c_i32_i8_e32 v11, v9, v21
	v_cvt_f32_i32_e32 v73, v72
	s_nop 1
	v_cvt_f32_i32_e32 v72, v11
	v_pk_fma_f32 v[8:9], v[8:9], v[72:73], v[10:11] op_sel_hi:[0,1,0]
	v_add_f32_e32 v9, v74, v9
	v_add_f32_e32 v8, v8, v9
	ds_bpermute_b32 v9, v63, v8
	s_waitcnt lgkmcnt(0)
	v_add_f32_e32 v8, v8, v9
	ds_bpermute_b32 v9, v64, v8
	s_waitcnt lgkmcnt(0)
	v_add_f32_e32 v72, v8, v9
	s_cbranch_vccnz .LBB0_27
; %bb.26:                               ;   in Loop: Header=BB0_19 Depth=1
	global_load_ushort v8, v[28:29], off
	s_waitcnt vmcnt(0)
	v_fma_mix_f32 v72, v59, v8, v72 op_sel_hi:[0,1,0]
.LBB0_27:                               ;   in Loop: Header=BB0_19 Depth=1
	v_lshl_add_u64 v[8:9], v[40:41], 0, s[26:27]
	global_load_dwordx4 v[74:77], v[8:9], off
	v_add_f32_e32 v8, 0x40051340, v5
	v_add_f32_e32 v9, 0x40051340, v6
	;; [unrolled: 1-line block ×4, first 2 shown]
	v_max3_f32 v8, v4, v8, v9
	v_max3_f32 v10, v8, v10, v11
	ds_bpermute_b32 v11, v65, v10
	v_lshl_add_u64 v[8:9], v[44:45], 0, s[26:27]
	global_load_dwordx4 v[78:81], v[8:9], off
	v_cndmask_b32_e64 v5, v71, v5, s[6:7]
	v_cndmask_b32_e64 v5, v5, v6, s[8:9]
	s_waitcnt lgkmcnt(0)
	v_max_f32_e32 v8, v11, v11
	v_max_f32_e32 v10, v10, v8
	ds_bpermute_b32 v11, v66, v10
	v_cndmask_b32_e64 v5, v5, v7, s[10:11]
	v_cndmask_b32_e64 v5, v5, v72, s[4:5]
	v_lshl_add_u64 v[8:9], v[48:49], 0, s[26:27]
	s_add_i32 s16, s16, s48
	s_waitcnt lgkmcnt(0)
	v_max_f32_e32 v11, v11, v11
	v_max_f32_e32 v71, v10, v11
	ds_bpermute_b32 v73, v67, v71
	global_load_dwordx4 v[8:11], v[8:9], off
	v_lshl_add_u64 v[22:23], v[22:23], 0, s[50:51]
	v_lshl_add_u64 v[24:25], v[24:25], 0, s[50:51]
	;; [unrolled: 1-line block ×3, first 2 shown]
	s_waitcnt lgkmcnt(0)
	v_max_f32_e32 v6, v73, v73
	v_max_f32_e32 v72, v71, v6
	v_sub_f32_e32 v6, v4, v72
	v_sub_f32_e32 v7, v5, v72
	v_mul_f32_e32 v4, 0x3fb8aa3b, v6
	v_mul_f32_e32 v5, 0x3fb8aa3b, v7
	v_fma_f32 v71, v6, s17, -v4
	v_rndne_f32_e32 v73, v4
	v_fma_f32 v82, v7, s17, -v5
	v_rndne_f32_e32 v83, v5
	v_fmac_f32_e32 v71, 0x32a5705f, v6
	v_sub_f32_e32 v4, v4, v73
	v_fmac_f32_e32 v82, 0x32a5705f, v7
	v_sub_f32_e32 v5, v5, v83
	v_add_f32_e32 v4, v4, v71
	v_cvt_i32_f32_e32 v73, v73
	v_add_f32_e32 v5, v5, v82
	v_exp_f32_e32 v71, v4
	v_cvt_i32_f32_e32 v83, v83
	v_exp_f32_e32 v82, v5
	v_cmp_ngt_f32_e32 vcc, s18, v6
	v_ldexp_f32 v71, v71, v73
	v_lshl_add_u64 v[4:5], v[52:53], 0, s[26:27]
	v_ldexp_f32 v73, v82, v83
	v_cndmask_b32_e32 v71, 0, v71, vcc
	v_cmp_ngt_f32_e32 vcc, s18, v7
	v_lshl_add_u64 v[28:29], v[28:29], 0, s[22:23]
	v_lshl_add_u64 v[30:31], v[30:31], 0, s[50:51]
	v_cndmask_b32_e32 v73, 0, v73, vcc
	v_cmp_nlt_f32_e32 vcc, s19, v6
	v_lshl_add_u64 v[32:33], v[32:33], 0, s[50:51]
	v_lshl_add_u64 v[34:35], v[34:35], 0, s[50:51]
	v_cndmask_b32_e32 v82, v70, v71, vcc
	v_cmp_nlt_f32_e32 vcc, s19, v7
	global_load_dwordx4 v[4:7], v[4:5], off
	v_lshl_add_u64 v[36:37], v[36:37], 0, s[50:51]
	v_cndmask_b32_e32 v71, v70, v73, vcc
	v_cvt_f16_f32_e32 v73, v82
	v_cvt_f16_f32_e32 v83, v71
	v_fma_f32 v62, v62, v82, v71
	v_lshl_add_u64 v[38:39], v[38:39], 0, s[50:51]
	v_mul_u32_u24_e32 v73, 0x10001, v73
	ds_write_b16 v58, v83
	v_pk_mul_f16 v14, v14, v73
	v_pk_mul_f16 v15, v15, v73
	;; [unrolled: 1-line block ×4, first 2 shown]
	v_lshl_add_u64 v[40:41], v[40:41], 0, s[52:53]
	v_lshl_add_u64 v[44:45], v[44:45], 0, s[52:53]
	;; [unrolled: 1-line block ×4, first 2 shown]
	s_cmp_ge_i32 s16, s42
	s_waitcnt vmcnt(3)
	v_lshlrev_b32_e32 v82, 16, v74
	v_and_b32_e32 v83, 0xffff0000, v74
	v_lshlrev_b32_e32 v85, 16, v76
	v_and_b32_e32 v76, 0xffff0000, v76
	;; [unrolled: 2-line block ×3, first 2 shown]
	ds_read_u16 v87, v68
	ds_read_u16 v88, v68 offset:32
	ds_read_u16 v89, v69 offset:8
	;; [unrolled: 1-line block ×7, first 2 shown]
	v_lshlrev_b32_e32 v84, 16, v75
	v_and_b32_e32 v75, 0xffff0000, v75
	s_waitcnt lgkmcnt(7)
	v_mul_u32_u24_e32 v87, 0x10001, v87
	v_cvt_pk_f16_f32 v76, v85, v76
	v_cvt_pk_f16_f32 v77, v86, v77
	;; [unrolled: 1-line block ×4, first 2 shown]
	v_pk_fma_f16 v76, v76, v87, v12
	v_pk_fma_f16 v83, v77, v87, v13
	v_lshl_add_u64 v[12:13], v[54:55], 0, s[26:27]
	v_pk_fma_f16 v82, v82, v87, v14
	v_pk_fma_f16 v75, v75, v87, v15
	s_waitcnt vmcnt(2)
	v_lshlrev_b32_e32 v77, 16, v78
	v_and_b32_e32 v78, 0xffff0000, v78
	v_lshlrev_b32_e32 v85, 16, v79
	v_and_b32_e32 v79, 0xffff0000, v79
	;; [unrolled: 2-line block ×4, first 2 shown]
	global_load_dwordx4 v[12:15], v[12:13], off
	s_waitcnt lgkmcnt(5)
	v_mul_u32_u24_e32 v84, 0x10001, v89
	v_cvt_pk_f16_f32 v77, v77, v78
	v_cvt_pk_f16_f32 v78, v85, v79
	;; [unrolled: 1-line block ×4, first 2 shown]
	s_waitcnt vmcnt(2)
	v_lshlrev_b32_e32 v85, 16, v8
	v_and_b32_e32 v86, 0xffff0000, v8
	v_lshlrev_b32_e32 v87, 16, v9
	v_and_b32_e32 v89, 0xffff0000, v9
	v_lshl_add_u64 v[8:9], v[50:51], 0, s[26:27]
	v_pk_fma_f16 v81, v77, v84, v82
	v_pk_fma_f16 v75, v78, v84, v75
	;; [unrolled: 1-line block ×3, first 2 shown]
	v_lshlrev_b32_e32 v93, 16, v10
	v_and_b32_e32 v94, 0xffff0000, v10
	v_lshlrev_b32_e32 v95, 16, v11
	v_and_b32_e32 v96, 0xffff0000, v11
	global_load_dwordx4 v[76:79], v[8:9], off
	v_pk_fma_f16 v80, v80, v84, v83
	s_waitcnt lgkmcnt(4)
	v_mul_u32_u24_e32 v83, 0x10001, v90
	v_cvt_pk_f16_f32 v84, v85, v86
	v_cvt_pk_f16_f32 v85, v87, v89
	v_lshl_add_u64 v[8:9], v[46:47], 0, s[26:27]
	v_cvt_pk_f16_f32 v86, v93, v94
	v_cvt_pk_f16_f32 v87, v95, v96
	global_load_dwordx4 v[8:11], v[8:9], off
	v_pk_fma_f16 v81, v84, v83, v81
	v_pk_fma_f16 v75, v85, v83, v75
	;; [unrolled: 1-line block ×4, first 2 shown]
	s_waitcnt lgkmcnt(3)
	v_mul_u32_u24_e32 v91, 0x10001, v91
	s_waitcnt lgkmcnt(1)
	v_mul_u32_u24_e32 v74, 0x10001, v74
	s_waitcnt vmcnt(3)
	v_lshlrev_b32_e32 v83, 16, v4
	v_and_b32_e32 v4, 0xffff0000, v4
	v_lshlrev_b32_e32 v84, 16, v5
	v_and_b32_e32 v85, 0xffff0000, v5
	v_cvt_pk_f16_f32 v83, v83, v4
	v_lshl_add_u64 v[4:5], v[42:43], 0, s[26:27]
	v_lshlrev_b32_e32 v86, 16, v6
	v_and_b32_e32 v87, 0xffff0000, v6
	v_lshlrev_b32_e32 v89, 16, v7
	v_and_b32_e32 v90, 0xffff0000, v7
	global_load_dwordx4 v[4:7], v[4:5], off
	v_cvt_pk_f16_f32 v84, v84, v85
	v_cvt_pk_f16_f32 v85, v86, v87
	;; [unrolled: 1-line block ×3, first 2 shown]
	v_pk_fma_f16 v75, v84, v91, v75
	v_pk_fma_f16 v82, v85, v91, v82
	;; [unrolled: 1-line block ×4, first 2 shown]
	v_mul_u32_u24_e32 v83, 0x10001, v88
	v_lshl_add_u64 v[42:43], v[42:43], 0, s[52:53]
	v_lshl_add_u64 v[46:47], v[46:47], 0, s[52:53]
	;; [unrolled: 1-line block ×4, first 2 shown]
	s_waitcnt vmcnt(3)
	v_lshlrev_b32_e32 v84, 16, v12
	v_and_b32_e32 v12, 0xffff0000, v12
	v_lshlrev_b32_e32 v85, 16, v13
	v_and_b32_e32 v13, 0xffff0000, v13
	;; [unrolled: 2-line block ×4, first 2 shown]
	v_cvt_pk_f16_f32 v12, v84, v12
	v_cvt_pk_f16_f32 v13, v85, v13
	;; [unrolled: 1-line block ×4, first 2 shown]
	v_pk_fma_f16 v12, v12, v83, v81
	v_pk_fma_f16 v13, v13, v83, v75
	v_pk_fma_f16 v14, v14, v83, v82
	v_pk_fma_f16 v15, v15, v83, v80
	v_mul_u32_u24_e32 v75, 0x10001, v92
	s_waitcnt vmcnt(2)
	v_lshlrev_b32_e32 v80, 16, v76
	v_and_b32_e32 v76, 0xffff0000, v76
	v_lshlrev_b32_e32 v81, 16, v77
	v_and_b32_e32 v77, 0xffff0000, v77
	;; [unrolled: 2-line block ×4, first 2 shown]
	v_cvt_pk_f16_f32 v76, v80, v76
	v_cvt_pk_f16_f32 v77, v81, v77
	;; [unrolled: 1-line block ×4, first 2 shown]
	v_pk_fma_f16 v12, v76, v75, v12
	v_pk_fma_f16 v13, v77, v75, v13
	v_pk_fma_f16 v14, v78, v75, v14
	v_pk_fma_f16 v15, v79, v75, v15
	s_waitcnt vmcnt(1)
	v_lshlrev_b32_e32 v75, 16, v8
	v_and_b32_e32 v8, 0xffff0000, v8
	v_lshlrev_b32_e32 v76, 16, v9
	v_and_b32_e32 v9, 0xffff0000, v9
	;; [unrolled: 2-line block ×4, first 2 shown]
	v_cvt_pk_f16_f32 v8, v75, v8
	v_cvt_pk_f16_f32 v9, v76, v9
	;; [unrolled: 1-line block ×4, first 2 shown]
	v_pk_fma_f16 v8, v8, v74, v12
	v_pk_fma_f16 v9, v9, v74, v13
	;; [unrolled: 1-line block ×4, first 2 shown]
	s_waitcnt lgkmcnt(0)
	v_mul_u32_u24_e32 v13, 0x10001, v73
	s_waitcnt vmcnt(0)
	v_lshlrev_b32_e32 v12, 16, v4
	v_and_b32_e32 v4, 0xffff0000, v4
	v_lshlrev_b32_e32 v14, 16, v5
	v_and_b32_e32 v5, 0xffff0000, v5
	;; [unrolled: 2-line block ×4, first 2 shown]
	v_cvt_pk_f16_f32 v4, v12, v4
	v_cvt_pk_f16_f32 v5, v14, v5
	v_cvt_pk_f16_f32 v6, v15, v6
	v_cvt_pk_f16_f32 v7, v73, v7
	v_pk_fma_f16 v14, v4, v13, v8
	v_pk_fma_f16 v15, v5, v13, v9
	;; [unrolled: 1-line block ×4, first 2 shown]
	s_cbranch_scc1 .LBB0_30
; %bb.28:                               ;   in Loop: Header=BB0_19 Depth=1
	v_mov_b32_e32 v4, v72
	s_branch .LBB0_19
.LBB0_29:
	v_mov_b32_e32 v14, 0
	v_mov_b32_e32 v72, 0xfeffffff
	v_mov_b32_e32 v12, 0
	v_mov_b32_e32 v15, 0
	v_mov_b32_e32 v13, 0
.LBB0_30:
	s_cmp_lg_u64 s[24:25], 0
	v_or_b32_e32 v0, s3, v56
	s_cselect_b64 s[4:5], -1, 0
	v_cmp_eq_u32_e32 vcc, 0, v0
	s_and_b64 s[6:7], vcc, s[4:5]
	s_and_saveexec_b64 s[4:5], s[6:7]
	s_cbranch_execz .LBB0_32
; %bb.31:
	s_lshl_b64 s[6:7], s[40:41], 2
	s_add_u32 s6, s24, s6
	s_addc_u32 s7, s25, s7
	s_load_dword s6, s[6:7], 0x0
	v_max_f32_e32 v0, v72, v72
	s_mov_b32 s7, 0x3fb8aa3b
	s_mov_b32 s8, 0x42b17218
	s_waitcnt lgkmcnt(0)
	v_max_f32_e64 v1, s6, s6
	v_max_f32_e32 v0, v0, v1
	v_sub_f32_e32 v1, s6, v0
	v_mul_f32_e32 v2, 0x3fb8aa3b, v1
	v_fma_f32 v3, v1, s7, -v2
	v_rndne_f32_e32 v4, v2
	v_fmac_f32_e32 v3, 0x32a5705f, v1
	v_sub_f32_e32 v2, v2, v4
	v_add_f32_e32 v2, v2, v3
	v_cvt_i32_f32_e32 v3, v4
	v_exp_f32_e32 v2, v2
	s_mov_b32 s6, 0xc2ce8ed0
	v_cmp_ngt_f32_e32 vcc, s6, v1
	v_ldexp_f32 v2, v2, v3
	v_sub_f32_e32 v3, v72, v0
	v_mul_f32_e32 v4, 0x3fb8aa3b, v3
	v_fma_f32 v5, v3, s7, -v4
	v_rndne_f32_e32 v6, v4
	v_fmac_f32_e32 v5, 0x32a5705f, v3
	v_sub_f32_e32 v4, v4, v6
	v_add_f32_e32 v4, v4, v5
	v_exp_f32_e32 v4, v4
	v_cvt_i32_f32_e32 v5, v6
	v_cndmask_b32_e32 v2, 0, v2, vcc
	v_mov_b32_e32 v6, 0x7f800000
	v_cmp_nlt_f32_e32 vcc, s8, v1
	v_mov_b32_e32 v72, v0
	s_nop 0
	v_cndmask_b32_e32 v1, v6, v2, vcc
	v_ldexp_f32 v2, v4, v5
	v_cmp_ngt_f32_e32 vcc, s6, v3
	s_nop 1
	v_cndmask_b32_e32 v2, 0, v2, vcc
	v_cmp_nlt_f32_e32 vcc, s8, v3
	s_nop 1
	v_cndmask_b32_e32 v2, v6, v2, vcc
	v_cvt_f16_f32_e32 v3, v2
	v_cmp_eq_u32_e32 vcc, 0, v57
	s_nop 1
	v_cndmask_b32_e32 v1, 0, v1, vcc
	v_fmac_f32_e32 v1, v62, v2
	v_mul_u32_u24_e32 v2, 0x10001, v3
	v_pk_mul_f16 v14, v14, v2
	v_pk_mul_f16 v15, v15, v2
	;; [unrolled: 1-line block ×4, first 2 shown]
	v_mov_b32_e32 v62, v1
.LBB0_32:
	s_or_b64 exec, exec, s[4:5]
	s_and_saveexec_b64 s[4:5], s[14:15]
; %bb.33:
	v_mov_b32_e32 v0, 0xfeffffff
	v_mov_b32_e32 v1, 0
	v_add_u32_e32 v2, 0x800, v60
	ds_write2_b32 v2, v0, v1 offset1:32
; %bb.34:
	s_or_b64 exec, exec, s[4:5]
	v_cmp_eq_u32_e32 vcc, 0, v57
	v_lshlrev_b32_e32 v7, 2, v56
	s_waitcnt lgkmcnt(0)
	s_barrier
	s_and_saveexec_b64 s[4:5], vcc
; %bb.35:
	ds_write_b32 v7, v72 offset:2048
; %bb.36:
	s_or_b64 exec, exec, s[4:5]
	v_mbcnt_hi_u32_b32 v0, -1, v61
	s_waitcnt lgkmcnt(0)
	s_barrier
	v_and_b32_e32 v1, 0x60, v0
	ds_read_b32 v2, v60 offset:2048
	v_add_u32_e32 v3, 32, v1
	v_xor_b32_e32 v1, 16, v0
	v_cmp_lt_i32_e64 s[4:5], v1, v3
	s_nop 1
	v_cndmask_b32_e64 v1, v0, v1, s[4:5]
	v_lshlrev_b32_e32 v6, 2, v1
	s_waitcnt lgkmcnt(0)
	ds_bpermute_b32 v4, v6, v2
	v_xor_b32_e32 v1, 8, v0
	v_cmp_lt_i32_e64 s[4:5], v1, v3
	v_max_f32_e32 v2, v2, v2
	s_waitcnt lgkmcnt(0)
	v_max_f32_e32 v4, v4, v4
	v_cndmask_b32_e64 v1, v0, v1, s[4:5]
	v_lshlrev_b32_e32 v1, 2, v1
	v_max_f32_e32 v4, v2, v4
	ds_bpermute_b32 v5, v1, v4
	v_xor_b32_e32 v2, 4, v0
	v_cmp_lt_i32_e64 s[4:5], v2, v3
	s_waitcnt lgkmcnt(0)
	v_max_f32_e32 v5, v5, v5
	v_cndmask_b32_e64 v2, v0, v2, s[4:5]
	v_lshlrev_b32_e32 v2, 2, v2
	v_max_f32_e32 v5, v4, v5
	ds_bpermute_b32 v8, v2, v5
	v_xor_b32_e32 v4, 2, v0
	v_cmp_lt_i32_e64 s[4:5], v4, v3
	;; [unrolled: 8-line block ×3, first 2 shown]
	s_nop 1
	v_cndmask_b32_e64 v0, v0, v5, s[4:5]
	v_lshlrev_b32_e32 v5, 2, v0
	s_waitcnt lgkmcnt(0)
	v_max_f32_e32 v0, v9, v9
	v_max_f32_e32 v0, v8, v0
	ds_bpermute_b32 v3, v5, v0
	s_mov_b32 s4, 0x3fb8aa3b
	s_waitcnt lgkmcnt(0)
	v_max_f32_e32 v3, v3, v3
	v_max_f32_e32 v0, v0, v3
	v_sub_f32_e32 v3, v72, v0
	v_mul_f32_e32 v8, 0x3fb8aa3b, v3
	v_fma_f32 v9, v3, s4, -v8
	v_rndne_f32_e32 v10, v8
	v_fmamk_f32 v9, v3, 0x32a5705f, v9
	v_sub_f32_e32 v8, v8, v10
	v_add_f32_e32 v8, v8, v9
	v_exp_f32_e32 v8, v8
	v_cvt_i32_f32_e32 v9, v10
	s_mov_b32 s4, 0xc2ce8ed0
	v_cmp_ngt_f32_e64 s[4:5], s4, v3
	v_and_b32_e32 v10, 0x780, v16
	v_ldexp_f32 v8, v8, v9
	v_cndmask_b32_e64 v8, 0, v8, s[4:5]
	s_mov_b32 s4, 0x42b17218
	v_mov_b32_e32 v9, 0x7f800000
	v_cmp_nlt_f32_e64 s[4:5], s4, v3
	v_lshl_add_u32 v10, v56, 9, v10
	s_nop 0
	v_cndmask_b32_e64 v3, v9, v8, s[4:5]
	v_mul_f32_e32 v8, v62, v3
	ds_bpermute_b32 v8, v6, v8
	s_movk_i32 s4, 0x70
	v_and_or_b32 v10, v16, s4, v10
	s_waitcnt lgkmcnt(0)
	v_fmac_f32_e32 v8, v62, v3
	ds_bpermute_b32 v9, v1, v8
	v_cvt_f16_f32_e32 v3, v3
	s_waitcnt lgkmcnt(0)
	v_add_f32_e32 v8, v8, v9
	ds_bpermute_b32 v9, v2, v8
	v_mul_u32_u24_e32 v3, 0x10001, v3
	v_pk_mul_f16 v11, v14, v3
	v_pk_mul_f16 v14, v15, v3
	v_pk_mul_f16 v12, v12, v3
	s_waitcnt lgkmcnt(0)
	v_add_f32_e32 v8, v8, v9
	ds_bpermute_b32 v9, v4, v8
	v_pk_mul_f16 v3, v13, v3
	ds_write2_b32 v10, v14, v12 offset0:1 offset1:2
	ds_write2_b32 v10, v11, v3 offset1:3
	s_waitcnt lgkmcnt(2)
	v_add_f32_e32 v8, v8, v9
	ds_bpermute_b32 v9, v5, v8
	s_waitcnt lgkmcnt(0)
	v_add_f32_e32 v3, v8, v9
	s_and_saveexec_b64 s[4:5], vcc
; %bb.37:
	ds_write_b32 v7, v3 offset:2176
; %bb.38:
	s_or_b64 exec, exec, s[4:5]
	s_waitcnt lgkmcnt(0)
	s_barrier
	s_load_dword s4, s[0:1], 0xd4
	s_mul_i32 s5, s33, s34
	s_add_i32 s0, s5, s2
	s_mul_i32 s0, s0, s35
	s_add_i32 s0, s0, s40
	v_cmp_gt_u32_e32 vcc, 64, v17
	s_waitcnt lgkmcnt(0)
	s_mul_i32 s2, s4, s0
	s_and_saveexec_b64 s[0:1], vcc
	s_cbranch_execz .LBB0_40
; %bb.39:
	ds_read_b32 v7, v60 offset:2176
	ds_read_u16 v3, v58
	ds_read_u16 v8, v58 offset:128
	ds_read_u16 v10, v58 offset:256
	;; [unrolled: 1-line block ×6, first 2 shown]
	s_waitcnt lgkmcnt(6)
	v_cvt_f32_f16_e32 v3, v3
	ds_bpermute_b32 v9, v6, v7
	s_waitcnt lgkmcnt(6)
	v_cvt_f32_f16_e32 v6, v8
	s_waitcnt lgkmcnt(5)
	v_cvt_f32_f16_e32 v8, v10
	;; [unrolled: 2-line block ×3, first 2 shown]
	v_add_f32_e32 v3, 0, v3
	v_add_f32_e32 v3, v3, v6
	s_waitcnt lgkmcnt(3)
	v_cvt_f32_f16_e32 v6, v12
	v_add_f32_e32 v3, v3, v8
	s_waitcnt lgkmcnt(2)
	v_cvt_f32_f16_e32 v8, v13
	;; [unrolled: 3-line block ×3, first 2 shown]
	ds_read_u16 v11, v58 offset:896
	ds_read_u16 v12, v58 offset:1024
	;; [unrolled: 1-line block ×8, first 2 shown]
	s_waitcnt lgkmcnt(7)
	v_cvt_f32_f16_e32 v11, v11
	v_add_f32_e32 v3, v3, v6
	v_add_f32_e32 v3, v3, v8
	s_waitcnt lgkmcnt(6)
	v_cvt_f32_f16_e32 v6, v12
	v_add_f32_e32 v3, v3, v10
	s_waitcnt lgkmcnt(5)
	v_cvt_f32_f16_e32 v10, v13
	;; [unrolled: 3-line block ×3, first 2 shown]
	s_waitcnt lgkmcnt(3)
	v_cvt_f32_f16_e32 v8, v15
	v_add_f32_e32 v3, v3, v6
	v_add_f32_e32 v3, v3, v10
	;; [unrolled: 1-line block ×3, first 2 shown]
	v_pk_add_f32 v[6:7], v[6:7], v[8:9]
	ds_bpermute_b32 v9, v1, v7
	s_waitcnt lgkmcnt(3)
	v_cvt_f32_f16_e32 v8, v16
	ds_read_u16 v1, v58 offset:1920
	s_add_i32 s5, s2, s3
	s_cmp_eq_u32 s4, 1
	s_waitcnt lgkmcnt(1)
	v_pk_add_f32 v[6:7], v[6:7], v[8:9]
	ds_bpermute_b32 v3, v2, v7
	v_cvt_f32_f16_e32 v2, v18
	v_lshl_or_b32 v8, s5, 6, v17
	v_mov_b32_e32 v9, 0
	s_waitcnt lgkmcnt(0)
	v_pk_add_f32 v[2:3], v[6:7], v[2:3]
	ds_bpermute_b32 v7, v4, v3
	v_cvt_f32_f16_e32 v6, v19
	v_mov_b32_e32 v4, s28
	s_waitcnt lgkmcnt(0)
	v_pk_add_f32 v[2:3], v[2:3], v[6:7]
	ds_bpermute_b32 v7, v5, v3
	v_cvt_f32_f16_e32 v6, v1
	v_mov_b32_e32 v5, s29
	v_lshl_add_u64 v[4:5], v[8:9], 2, v[4:5]
	s_waitcnt lgkmcnt(0)
	v_pk_add_f32 v[2:3], v[2:3], v[6:7]
	s_nop 0
	v_div_scale_f32 v1, s[6:7], v3, v3, v2
	v_rcp_f32_e32 v6, v1
	s_nop 0
	v_fma_f32 v7, -v1, v6, 1.0
	v_fmac_f32_e32 v6, v7, v6
	v_div_scale_f32 v7, vcc, v2, v3, v2
	v_mul_f32_e32 v8, v7, v6
	v_fma_f32 v9, -v1, v8, v7
	v_fmac_f32_e32 v8, v9, v6
	v_fma_f32 v1, -v1, v8, v7
	v_div_fmas_f32 v1, v1, v6, v8
	v_div_fixup_f32 v1, v1, v3, v2
	s_cselect_b64 vcc, -1, 0
	v_cndmask_b32_e32 v1, v2, v1, vcc
	global_store_dword v[4:5], v1, off
.LBB0_40:
	s_or_b64 exec, exec, s[0:1]
	s_cmp_lg_u32 s4, 1
	s_cselect_b64 s[4:5], -1, 0
	v_cmp_eq_u32_e32 vcc, 0, v17
	s_mov_b32 s1, 0
	s_and_b64 s[4:5], vcc, s[4:5]
	s_and_saveexec_b64 s[6:7], s[4:5]
	s_cbranch_execz .LBB0_42
; %bb.41:
	s_add_i32 s0, s2, s3
	s_lshl_b64 s[0:1], s[0:1], 3
	s_add_u32 s0, s30, s0
	s_addc_u32 s1, s31, s1
	v_mov_b32_e32 v2, 0
	v_mov_b32_e32 v1, v3
	global_store_dwordx2 v2, v[0:1], s[0:1]
.LBB0_42:
	s_endpgm
	.section	.rodata,"a",@progbits
	.p2align	6, 0x0
	.amdhsa_kernel _ZL18flash_attn_ext_vecILi64ELi1EL9ggml_type3ELS0_30ELb0EEvPKcS2_S2_S2_S2_PKiPfP15HIP_vector_typeIfLj2EEffffjfiS6_IjLj3EEiiiiiiiiiiiliiliiiiil
		.amdhsa_group_segment_fixed_size 2304
		.amdhsa_private_segment_fixed_size 0
		.amdhsa_kernarg_size 464
		.amdhsa_user_sgpr_count 2
		.amdhsa_user_sgpr_dispatch_ptr 0
		.amdhsa_user_sgpr_queue_ptr 0
		.amdhsa_user_sgpr_kernarg_segment_ptr 1
		.amdhsa_user_sgpr_dispatch_id 0
		.amdhsa_user_sgpr_kernarg_preload_length 0
		.amdhsa_user_sgpr_kernarg_preload_offset 0
		.amdhsa_user_sgpr_private_segment_size 0
		.amdhsa_uses_dynamic_stack 0
		.amdhsa_enable_private_segment 0
		.amdhsa_system_sgpr_workgroup_id_x 1
		.amdhsa_system_sgpr_workgroup_id_y 1
		.amdhsa_system_sgpr_workgroup_id_z 1
		.amdhsa_system_sgpr_workgroup_info 0
		.amdhsa_system_vgpr_workitem_id 1
		.amdhsa_next_free_vgpr 97
		.amdhsa_next_free_sgpr 67
		.amdhsa_accum_offset 100
		.amdhsa_reserve_vcc 1
		.amdhsa_float_round_mode_32 0
		.amdhsa_float_round_mode_16_64 0
		.amdhsa_float_denorm_mode_32 3
		.amdhsa_float_denorm_mode_16_64 3
		.amdhsa_dx10_clamp 1
		.amdhsa_ieee_mode 1
		.amdhsa_fp16_overflow 0
		.amdhsa_tg_split 0
		.amdhsa_exception_fp_ieee_invalid_op 0
		.amdhsa_exception_fp_denorm_src 0
		.amdhsa_exception_fp_ieee_div_zero 0
		.amdhsa_exception_fp_ieee_overflow 0
		.amdhsa_exception_fp_ieee_underflow 0
		.amdhsa_exception_fp_ieee_inexact 0
		.amdhsa_exception_int_div_zero 0
	.end_amdhsa_kernel
	.section	.text._ZL18flash_attn_ext_vecILi64ELi1EL9ggml_type3ELS0_30ELb0EEvPKcS2_S2_S2_S2_PKiPfP15HIP_vector_typeIfLj2EEffffjfiS6_IjLj3EEiiiiiiiiiiiliiliiiiil,"axG",@progbits,_ZL18flash_attn_ext_vecILi64ELi1EL9ggml_type3ELS0_30ELb0EEvPKcS2_S2_S2_S2_PKiPfP15HIP_vector_typeIfLj2EEffffjfiS6_IjLj3EEiiiiiiiiiiiliiliiiiil,comdat
.Lfunc_end0:
	.size	_ZL18flash_attn_ext_vecILi64ELi1EL9ggml_type3ELS0_30ELb0EEvPKcS2_S2_S2_S2_PKiPfP15HIP_vector_typeIfLj2EEffffjfiS6_IjLj3EEiiiiiiiiiiiliiliiiiil, .Lfunc_end0-_ZL18flash_attn_ext_vecILi64ELi1EL9ggml_type3ELS0_30ELb0EEvPKcS2_S2_S2_S2_PKiPfP15HIP_vector_typeIfLj2EEffffjfiS6_IjLj3EEiiiiiiiiiiiliiliiiiil
                                        ; -- End function
	.set _ZL18flash_attn_ext_vecILi64ELi1EL9ggml_type3ELS0_30ELb0EEvPKcS2_S2_S2_S2_PKiPfP15HIP_vector_typeIfLj2EEffffjfiS6_IjLj3EEiiiiiiiiiiiliiliiiiil.num_vgpr, 97
	.set _ZL18flash_attn_ext_vecILi64ELi1EL9ggml_type3ELS0_30ELb0EEvPKcS2_S2_S2_S2_PKiPfP15HIP_vector_typeIfLj2EEffffjfiS6_IjLj3EEiiiiiiiiiiiliiliiiiil.num_agpr, 0
	.set _ZL18flash_attn_ext_vecILi64ELi1EL9ggml_type3ELS0_30ELb0EEvPKcS2_S2_S2_S2_PKiPfP15HIP_vector_typeIfLj2EEffffjfiS6_IjLj3EEiiiiiiiiiiiliiliiiiil.numbered_sgpr, 67
	.set _ZL18flash_attn_ext_vecILi64ELi1EL9ggml_type3ELS0_30ELb0EEvPKcS2_S2_S2_S2_PKiPfP15HIP_vector_typeIfLj2EEffffjfiS6_IjLj3EEiiiiiiiiiiiliiliiiiil.num_named_barrier, 0
	.set _ZL18flash_attn_ext_vecILi64ELi1EL9ggml_type3ELS0_30ELb0EEvPKcS2_S2_S2_S2_PKiPfP15HIP_vector_typeIfLj2EEffffjfiS6_IjLj3EEiiiiiiiiiiiliiliiiiil.private_seg_size, 0
	.set _ZL18flash_attn_ext_vecILi64ELi1EL9ggml_type3ELS0_30ELb0EEvPKcS2_S2_S2_S2_PKiPfP15HIP_vector_typeIfLj2EEffffjfiS6_IjLj3EEiiiiiiiiiiiliiliiiiil.uses_vcc, 1
	.set _ZL18flash_attn_ext_vecILi64ELi1EL9ggml_type3ELS0_30ELb0EEvPKcS2_S2_S2_S2_PKiPfP15HIP_vector_typeIfLj2EEffffjfiS6_IjLj3EEiiiiiiiiiiiliiliiiiil.uses_flat_scratch, 0
	.set _ZL18flash_attn_ext_vecILi64ELi1EL9ggml_type3ELS0_30ELb0EEvPKcS2_S2_S2_S2_PKiPfP15HIP_vector_typeIfLj2EEffffjfiS6_IjLj3EEiiiiiiiiiiiliiliiiiil.has_dyn_sized_stack, 0
	.set _ZL18flash_attn_ext_vecILi64ELi1EL9ggml_type3ELS0_30ELb0EEvPKcS2_S2_S2_S2_PKiPfP15HIP_vector_typeIfLj2EEffffjfiS6_IjLj3EEiiiiiiiiiiiliiliiiiil.has_recursion, 0
	.set _ZL18flash_attn_ext_vecILi64ELi1EL9ggml_type3ELS0_30ELb0EEvPKcS2_S2_S2_S2_PKiPfP15HIP_vector_typeIfLj2EEffffjfiS6_IjLj3EEiiiiiiiiiiiliiliiiiil.has_indirect_call, 0
	.section	.AMDGPU.csdata,"",@progbits
; Kernel info:
; codeLenInByte = 8332
; TotalNumSgprs: 73
; NumVgprs: 97
; NumAgprs: 0
; TotalNumVgprs: 97
; ScratchSize: 0
; MemoryBound: 0
; FloatMode: 240
; IeeeMode: 1
; LDSByteSize: 2304 bytes/workgroup (compile time only)
; SGPRBlocks: 9
; VGPRBlocks: 12
; NumSGPRsForWavesPerEU: 73
; NumVGPRsForWavesPerEU: 97
; AccumOffset: 100
; Occupancy: 4
; WaveLimiterHint : 0
; COMPUTE_PGM_RSRC2:SCRATCH_EN: 0
; COMPUTE_PGM_RSRC2:USER_SGPR: 2
; COMPUTE_PGM_RSRC2:TRAP_HANDLER: 0
; COMPUTE_PGM_RSRC2:TGID_X_EN: 1
; COMPUTE_PGM_RSRC2:TGID_Y_EN: 1
; COMPUTE_PGM_RSRC2:TGID_Z_EN: 1
; COMPUTE_PGM_RSRC2:TIDIG_COMP_CNT: 1
; COMPUTE_PGM_RSRC3_GFX90A:ACCUM_OFFSET: 24
; COMPUTE_PGM_RSRC3_GFX90A:TG_SPLIT: 0
	.section	.text._ZL25flash_attn_mask_to_KV_maxILi1EEvPK7__half2Piiii,"axG",@progbits,_ZL25flash_attn_mask_to_KV_maxILi1EEvPK7__half2Piiii,comdat
	.globl	_ZL25flash_attn_mask_to_KV_maxILi1EEvPK7__half2Piiii ; -- Begin function _ZL25flash_attn_mask_to_KV_maxILi1EEvPK7__half2Piiii
	.p2align	8
	.type	_ZL25flash_attn_mask_to_KV_maxILi1EEvPK7__half2Piiii,@function
_ZL25flash_attn_mask_to_KV_maxILi1EEvPK7__half2Piiii: ; @_ZL25flash_attn_mask_to_KV_maxILi1EEvPK7__half2Piiii
; %bb.0:
	s_load_dwordx4 s[4:7], s[0:1], 0x0
	v_cmp_gt_u32_e32 vcc, 32, v0
	s_and_saveexec_b64 s[8:9], vcc
; %bb.1:
	v_lshlrev_b32_e32 v1, 2, v0
	v_mov_b32_e32 v2, 1
	ds_write_b32 v1, v2
; %bb.2:
	s_or_b64 exec, exec, s[8:9]
	s_load_dwordx4 s[16:19], s[0:1], 0x10
	s_load_dword s14, s[0:1], 0x20
	v_and_b32_e32 v2, 31, v0
	v_lshlrev_b32_e32 v4, 2, v2
	v_lshrrev_b32_e32 v1, 3, v0
	s_waitcnt lgkmcnt(0)
	s_mul_i32 s0, s18, s3
	s_mul_i32 s1, s17, s2
	s_add_i32 s0, s0, s1
	s_ashr_i32 s1, s0, 31
	s_lshl_b64 s[0:1], s[0:1], 2
	s_add_u32 s8, s4, s0
	s_addc_u32 s9, s5, s1
	v_cmp_eq_u32_e64 s[0:1], 0, v2
	v_mbcnt_lo_u32_b32 v2, -1, 0
	v_mbcnt_hi_u32_b32 v5, -1, v2
	v_and_b32_e32 v2, 0x60, v5
	s_lshl_b32 s15, s16, 8
	s_mov_b64 s[10:11], 0
	v_mov_b32_e32 v3, 0
	s_movk_i32 s16, 0x204
	v_add_u32_e32 v6, 32, v2
	v_xor_b32_e32 v7, 16, v5
	v_xor_b32_e32 v8, 8, v5
	;; [unrolled: 1-line block ×5, first 2 shown]
	s_barrier
                                        ; implicit-def: $sgpr4_sgpr5
	s_branch .LBB1_5
.LBB1_3:                                ;   in Loop: Header=BB1_5 Depth=1
	s_or_b64 exec, exec, s[12:13]
	s_waitcnt lgkmcnt(0)
	s_barrier
	ds_read_b32 v16, v4
	s_waitcnt lgkmcnt(0)
	s_barrier
	ds_bpermute_b32 v2, v2, v16
	v_cmp_ne_u32_e32 vcc, 0, v16
	s_waitcnt lgkmcnt(0)
	v_cmp_ne_u32_e64 s[4:5], 0, v2
	s_and_b64 s[4:5], vcc, s[4:5]
	s_nop 0
	v_cndmask_b32_e64 v2, 0, 1, s[4:5]
	ds_bpermute_b32 v2, v12, v2
	s_waitcnt lgkmcnt(0)
	v_cmp_ne_u32_e32 vcc, 0, v2
	s_and_b64 s[4:5], vcc, s[4:5]
	v_cndmask_b32_e64 v2, 0, 1, s[4:5]
	ds_bpermute_b32 v2, v13, v2
	s_waitcnt lgkmcnt(0)
	v_cmp_ne_u32_e32 vcc, 0, v2
	s_and_b64 s[4:5], vcc, s[4:5]
	;; [unrolled: 5-line block ×3, first 2 shown]
	v_cndmask_b32_e64 v2, 0, 1, s[4:5]
	ds_bpermute_b32 v2, v15, v2
	s_xor_b64 s[4:5], s[4:5], -1
	s_waitcnt lgkmcnt(0)
	v_cmp_eq_u32_e32 vcc, 0, v2
	s_or_b64 s[4:5], vcc, s[4:5]
.LBB1_4:                                ;   in Loop: Header=BB1_5 Depth=1
	s_and_b64 s[12:13], exec, s[4:5]
	s_or_b64 s[10:11], s[12:13], s[10:11]
	v_mov_b32_e32 v2, s15
	s_mov_b32 s15, s17
	s_andn2_b64 exec, exec, s[10:11]
	s_cbranch_execz .LBB1_10
.LBB1_5:                                ; =>This Inner Loop Header: Depth=1
	s_add_i32 s17, s15, 0xffffff00
	s_or_b64 s[4:5], s[4:5], exec
	s_cmp_lt_i32 s17, 0
	s_cbranch_scc1 .LBB1_4
; %bb.6:                                ;   in Loop: Header=BB1_5 Depth=1
	s_lshr_b32 s4, s17, 1
	v_add_u32_e32 v2, s4, v0
	v_lshl_add_u64 v[12:13], v[2:3], 2, s[8:9]
	global_load_dword v2, v[12:13], off
	v_mov_b32_e32 v12, 0
	s_waitcnt vmcnt(0)
	v_cmp_class_f16_e64 s[12:13], v2, s16
	s_and_saveexec_b64 s[4:5], s[12:13]
; %bb.7:                                ;   in Loop: Header=BB1_5 Depth=1
	v_cmp_class_f16_sdwa s[12:13], v2, s16 src0_sel:WORD_1 src1_sel:DWORD
	s_nop 1
	v_cndmask_b32_e64 v12, 0, 1, s[12:13]
; %bb.8:                                ;   in Loop: Header=BB1_5 Depth=1
	s_or_b64 exec, exec, s[4:5]
	v_cmp_lt_i32_e32 vcc, v7, v6
	s_nop 1
	v_cndmask_b32_e32 v2, v5, v7, vcc
	v_lshlrev_b32_e32 v2, 2, v2
	ds_bpermute_b32 v13, v2, v12
	v_cmp_ne_u32_e32 vcc, 0, v12
	s_waitcnt lgkmcnt(0)
	v_cmp_ne_u32_e64 s[4:5], 0, v13
	s_and_b64 s[4:5], vcc, s[4:5]
	v_cmp_lt_i32_e32 vcc, v8, v6
	v_cndmask_b32_e64 v13, 0, 1, s[4:5]
	s_nop 0
	v_cndmask_b32_e32 v12, v5, v8, vcc
	v_lshlrev_b32_e32 v12, 2, v12
	ds_bpermute_b32 v13, v12, v13
	s_waitcnt lgkmcnt(0)
	v_cmp_ne_u32_e32 vcc, 0, v13
	s_and_b64 s[4:5], vcc, s[4:5]
	v_cmp_lt_i32_e32 vcc, v9, v6
	v_cndmask_b32_e64 v14, 0, 1, s[4:5]
	s_nop 0
	v_cndmask_b32_e32 v13, v5, v9, vcc
	v_lshlrev_b32_e32 v13, 2, v13
	ds_bpermute_b32 v14, v13, v14
	s_waitcnt lgkmcnt(0)
	v_cmp_ne_u32_e32 vcc, 0, v14
	;; [unrolled: 9-line block ×3, first 2 shown]
	s_and_b64 s[4:5], vcc, s[4:5]
	v_cmp_lt_i32_e32 vcc, v11, v6
	v_cndmask_b32_e64 v16, 0, 1, s[4:5]
	s_nop 0
	v_cndmask_b32_e32 v15, v5, v11, vcc
	v_lshlrev_b32_e32 v15, 2, v15
	ds_bpermute_b32 v16, v15, v16
	s_and_saveexec_b64 s[12:13], s[0:1]
	s_cbranch_execz .LBB1_3
; %bb.9:                                ;   in Loop: Header=BB1_5 Depth=1
	s_waitcnt lgkmcnt(0)
	v_cmp_ne_u32_e32 vcc, 0, v16
	s_and_b64 s[4:5], vcc, s[4:5]
	v_cndmask_b32_e64 v16, 0, 1, s[4:5]
	ds_write_b32 v1, v16
	s_branch .LBB1_3
.LBB1_10:
	s_or_b64 exec, exec, s[10:11]
	v_cmp_eq_u32_e32 vcc, 0, v0
	s_and_saveexec_b64 s[0:1], vcc
	s_cbranch_execz .LBB1_12
; %bb.11:
	s_mul_i32 s0, s14, s3
	s_add_i32 s0, s0, s2
	s_ashr_i32 s1, s0, 31
	s_lshl_b64 s[0:1], s[0:1], 2
	s_add_u32 s0, s6, s0
	s_addc_u32 s1, s7, s1
	v_mov_b32_e32 v0, 0
	global_store_dword v0, v2, s[0:1]
.LBB1_12:
	s_endpgm
	.section	.rodata,"a",@progbits
	.p2align	6, 0x0
	.amdhsa_kernel _ZL25flash_attn_mask_to_KV_maxILi1EEvPK7__half2Piiii
		.amdhsa_group_segment_fixed_size 128
		.amdhsa_private_segment_fixed_size 0
		.amdhsa_kernarg_size 288
		.amdhsa_user_sgpr_count 2
		.amdhsa_user_sgpr_dispatch_ptr 0
		.amdhsa_user_sgpr_queue_ptr 0
		.amdhsa_user_sgpr_kernarg_segment_ptr 1
		.amdhsa_user_sgpr_dispatch_id 0
		.amdhsa_user_sgpr_kernarg_preload_length 0
		.amdhsa_user_sgpr_kernarg_preload_offset 0
		.amdhsa_user_sgpr_private_segment_size 0
		.amdhsa_uses_dynamic_stack 0
		.amdhsa_enable_private_segment 0
		.amdhsa_system_sgpr_workgroup_id_x 1
		.amdhsa_system_sgpr_workgroup_id_y 1
		.amdhsa_system_sgpr_workgroup_id_z 0
		.amdhsa_system_sgpr_workgroup_info 0
		.amdhsa_system_vgpr_workitem_id 0
		.amdhsa_next_free_vgpr 17
		.amdhsa_next_free_sgpr 20
		.amdhsa_accum_offset 20
		.amdhsa_reserve_vcc 1
		.amdhsa_float_round_mode_32 0
		.amdhsa_float_round_mode_16_64 0
		.amdhsa_float_denorm_mode_32 3
		.amdhsa_float_denorm_mode_16_64 3
		.amdhsa_dx10_clamp 1
		.amdhsa_ieee_mode 1
		.amdhsa_fp16_overflow 0
		.amdhsa_tg_split 0
		.amdhsa_exception_fp_ieee_invalid_op 0
		.amdhsa_exception_fp_denorm_src 0
		.amdhsa_exception_fp_ieee_div_zero 0
		.amdhsa_exception_fp_ieee_overflow 0
		.amdhsa_exception_fp_ieee_underflow 0
		.amdhsa_exception_fp_ieee_inexact 0
		.amdhsa_exception_int_div_zero 0
	.end_amdhsa_kernel
	.section	.text._ZL25flash_attn_mask_to_KV_maxILi1EEvPK7__half2Piiii,"axG",@progbits,_ZL25flash_attn_mask_to_KV_maxILi1EEvPK7__half2Piiii,comdat
.Lfunc_end1:
	.size	_ZL25flash_attn_mask_to_KV_maxILi1EEvPK7__half2Piiii, .Lfunc_end1-_ZL25flash_attn_mask_to_KV_maxILi1EEvPK7__half2Piiii
                                        ; -- End function
	.set _ZL25flash_attn_mask_to_KV_maxILi1EEvPK7__half2Piiii.num_vgpr, 17
	.set _ZL25flash_attn_mask_to_KV_maxILi1EEvPK7__half2Piiii.num_agpr, 0
	.set _ZL25flash_attn_mask_to_KV_maxILi1EEvPK7__half2Piiii.numbered_sgpr, 20
	.set _ZL25flash_attn_mask_to_KV_maxILi1EEvPK7__half2Piiii.num_named_barrier, 0
	.set _ZL25flash_attn_mask_to_KV_maxILi1EEvPK7__half2Piiii.private_seg_size, 0
	.set _ZL25flash_attn_mask_to_KV_maxILi1EEvPK7__half2Piiii.uses_vcc, 1
	.set _ZL25flash_attn_mask_to_KV_maxILi1EEvPK7__half2Piiii.uses_flat_scratch, 0
	.set _ZL25flash_attn_mask_to_KV_maxILi1EEvPK7__half2Piiii.has_dyn_sized_stack, 0
	.set _ZL25flash_attn_mask_to_KV_maxILi1EEvPK7__half2Piiii.has_recursion, 0
	.set _ZL25flash_attn_mask_to_KV_maxILi1EEvPK7__half2Piiii.has_indirect_call, 0
	.section	.AMDGPU.csdata,"",@progbits
; Kernel info:
; codeLenInByte = 768
; TotalNumSgprs: 26
; NumVgprs: 17
; NumAgprs: 0
; TotalNumVgprs: 17
; ScratchSize: 0
; MemoryBound: 0
; FloatMode: 240
; IeeeMode: 1
; LDSByteSize: 128 bytes/workgroup (compile time only)
; SGPRBlocks: 3
; VGPRBlocks: 2
; NumSGPRsForWavesPerEU: 26
; NumVGPRsForWavesPerEU: 17
; AccumOffset: 20
; Occupancy: 8
; WaveLimiterHint : 0
; COMPUTE_PGM_RSRC2:SCRATCH_EN: 0
; COMPUTE_PGM_RSRC2:USER_SGPR: 2
; COMPUTE_PGM_RSRC2:TRAP_HANDLER: 0
; COMPUTE_PGM_RSRC2:TGID_X_EN: 1
; COMPUTE_PGM_RSRC2:TGID_Y_EN: 1
; COMPUTE_PGM_RSRC2:TGID_Z_EN: 0
; COMPUTE_PGM_RSRC2:TIDIG_COMP_CNT: 0
; COMPUTE_PGM_RSRC3_GFX90A:ACCUM_OFFSET: 4
; COMPUTE_PGM_RSRC3_GFX90A:TG_SPLIT: 0
	.section	.text._ZL33flash_attn_stream_k_fixup_uniformILi64ELi1ELi1EEvPfPK15HIP_vector_typeIfLj2EEiiiiiiS1_IjLj3EES5_S5_,"axG",@progbits,_ZL33flash_attn_stream_k_fixup_uniformILi64ELi1ELi1EEvPfPK15HIP_vector_typeIfLj2EEiiiiiiS1_IjLj3EES5_S5_,comdat
	.globl	_ZL33flash_attn_stream_k_fixup_uniformILi64ELi1ELi1EEvPfPK15HIP_vector_typeIfLj2EEiiiiiiS1_IjLj3EES5_S5_ ; -- Begin function _ZL33flash_attn_stream_k_fixup_uniformILi64ELi1ELi1EEvPfPK15HIP_vector_typeIfLj2EEiiiiiiS1_IjLj3EES5_S5_
	.p2align	8
	.type	_ZL33flash_attn_stream_k_fixup_uniformILi64ELi1ELi1EEvPfPK15HIP_vector_typeIfLj2EEiiiiiiS1_IjLj3EES5_S5_,@function
_ZL33flash_attn_stream_k_fixup_uniformILi64ELi1ELi1EEvPfPK15HIP_vector_typeIfLj2EEiiiiiiS1_IjLj3EES5_S5_: ; @_ZL33flash_attn_stream_k_fixup_uniformILi64ELi1ELi1EEvPfPK15HIP_vector_typeIfLj2EEiiiiiiS1_IjLj3EES5_S5_
; %bb.0:
	s_load_dwordx8 s[8:15], s[0:1], 0x1c
	s_load_dwordx2 s[6:7], s[0:1], 0x10
	s_load_dwordx4 s[16:19], s[0:1], 0x3c
	s_waitcnt lgkmcnt(0)
	s_mul_hi_u32 s5, s11, s2
	s_add_i32 s5, s2, s5
	s_lshr_b32 s5, s5, s12
	s_mul_i32 s11, s5, s13
	s_sub_i32 s12, s2, s11
	s_mul_hi_u32 s11, s12, s14
	s_add_i32 s11, s12, s11
	s_lshr_b32 s11, s11, s15
	s_mul_i32 s13, s11, s16
	s_sub_i32 s12, s12, s13
	;; [unrolled: 5-line block ×3, first 2 shown]
	s_add_i32 s17, s17, s3
	s_cmp_lt_i32 s17, s6
	s_cselect_b64 s[12:13], -1, 0
	s_add_i32 s16, s16, s4
	s_cmp_lt_i32 s16, s9
	s_cselect_b64 s[14:15], -1, 0
	s_and_b64 s[12:13], s[12:13], s[14:15]
	s_andn2_b64 vcc, exec, s[12:13]
	s_cbranch_vccnz .LBB2_6
; %bb.1:
	s_load_dwordx4 s[12:15], s[0:1], 0x0
	s_mul_i32 s5, s5, s6
	s_mul_i32 s11, s11, s9
	s_add_i32 s0, s17, s5
	s_mul_i32 s0, s0, s7
	s_add_i32 s1, s16, s11
	s_add_i32 s1, s1, s0
	v_lshl_or_b32 v4, s1, 6, v0
	s_waitcnt lgkmcnt(0)
	v_mov_b32_e32 v2, s12
	v_mov_b32_e32 v3, s13
	v_ashrrev_i32_e32 v5, 31, v4
	v_lshl_add_u64 v[2:3], v[4:5], 2, v[2:3]
	global_load_dword v5, v[2:3], off
	s_add_i32 s6, s3, s4
	s_mul_i32 s4, s10, s2
	s_add_i32 s5, s4, s10
	s_add_i32 s7, s6, s5
	s_add_i32 s0, s7, -1
	s_ashr_i32 s1, s0, 31
	s_lshl_b64 s[0:1], s[0:1], 3
	s_add_u32 s0, s14, s0
	s_addc_u32 s1, s15, s1
	s_load_dword s9, s[0:1], 0x4
	s_add_i32 s2, s5, -2
	s_cmp_lt_i32 s2, s4
	s_cbranch_scc1 .LBB2_4
; %bb.2:
	s_load_dword s0, s[0:1], 0x0
	s_lshl_b32 s2, s8, 2
	s_ashr_i32 s3, s2, 31
	s_lshl_b64 s[2:3], s[2:3], 2
	s_add_u32 s2, s14, s2
	v_lshl_or_b32 v0, s7, 6, v0
	s_addc_u32 s3, s15, s3
	s_add_i32 s5, s5, -1
	s_add_i32 s6, s6, s8
	v_add_u32_e32 v0, 0xffffff80, v0
	s_waitcnt lgkmcnt(0)
	v_mov_b32_e32 v6, s0
	v_mov_b32_e32 v4, s9
	s_mov_b32 s7, 0x3fb8aa3b
	s_mov_b32 s8, 0xc2ce8ed0
	;; [unrolled: 1-line block ×3, first 2 shown]
	v_mov_b32_e32 v7, 0x7f800000
	s_mov_b32 s10, 0xc1a00000
.LBB2_3:                                ; =>This Inner Loop Header: Depth=1
	v_ashrrev_i32_e32 v1, 31, v0
	v_lshl_add_u64 v[8:9], v[0:1], 2, s[2:3]
	global_load_dword v9, v[8:9], off
	s_add_i32 s5, s5, -1
	s_add_i32 s0, s5, s6
	s_ashr_i32 s1, s0, 31
	s_lshl_b64 s[0:1], s[0:1], 3
	s_add_u32 s0, s14, s0
	s_addc_u32 s1, s15, s1
	s_load_dwordx2 s[0:1], s[0:1], 0x0
	v_max_f32_e32 v1, v6, v6
	v_subrev_u32_e32 v0, 64, v0
	s_cmp_le_i32 s5, s4
	s_waitcnt lgkmcnt(0)
	v_max_f32_e64 v10, s0, s0
	v_max_f32_e32 v1, v1, v10
	v_sub_f32_e32 v11, s0, v1
	v_sub_f32_e32 v10, v6, v1
	v_mul_f32_e32 v12, 0x3fb8aa3b, v11
	v_mov_b32_e32 v6, v1
	v_mul_f32_e32 v1, 0x3fb8aa3b, v10
	v_fma_f32 v15, v11, s7, -v12
	v_rndne_f32_e32 v16, v12
	v_fma_f32 v13, v10, s7, -v1
	v_rndne_f32_e32 v14, v1
	v_fmac_f32_e32 v15, 0x32a5705f, v11
	v_sub_f32_e32 v12, v12, v16
	v_fmac_f32_e32 v13, 0x32a5705f, v10
	v_sub_f32_e32 v1, v1, v14
	v_add_f32_e32 v12, v12, v15
	v_cvt_i32_f32_e32 v16, v16
	v_add_f32_e32 v1, v1, v13
	v_exp_f32_e32 v12, v12
	v_cvt_i32_f32_e32 v14, v14
	v_exp_f32_e32 v1, v1
	v_cmp_ngt_f32_e32 vcc, s8, v11
	v_ldexp_f32 v12, v12, v16
	v_mov_b32_e32 v8, s1
	v_ldexp_f32 v1, v1, v14
	v_cmp_ngt_f32_e64 s[0:1], s8, v10
	v_cndmask_b32_e32 v12, 0, v12, vcc
	v_cmp_nlt_f32_e32 vcc, s9, v11
	v_cndmask_b32_e64 v1, 0, v1, s[0:1]
	v_cmp_nlt_f32_e64 s[0:1], s9, v10
	v_cndmask_b32_e32 v12, v7, v12, vcc
	v_cmp_le_f32_e32 vcc, s10, v11
	v_cndmask_b32_e64 v1, v7, v1, s[0:1]
	v_cmp_le_f32_e64 s[0:1], s10, v10
	v_cndmask_b32_e32 v12, 0, v12, vcc
	s_waitcnt vmcnt(0)
	v_pk_mul_f32 v[8:9], v[8:9], v[12:13] op_sel_hi:[1,0]
	v_cndmask_b32_e64 v10, 0, v1, s[0:1]
	v_pk_fma_f32 v[4:5], v[4:5], v[10:11], v[8:9] op_sel_hi:[1,0,1]
	s_cbranch_scc0 .LBB2_3
	s_branch .LBB2_5
.LBB2_4:
	s_waitcnt lgkmcnt(0)
	v_mov_b32_e32 v4, s9
.LBB2_5:
	s_waitcnt vmcnt(0)
	v_div_scale_f32 v0, s[0:1], v4, v4, v5
	v_rcp_f32_e32 v1, v0
	v_div_scale_f32 v6, vcc, v5, v4, v5
	v_fma_f32 v7, -v0, v1, 1.0
	v_fmac_f32_e32 v1, v7, v1
	v_mul_f32_e32 v7, v6, v1
	v_fma_f32 v8, -v0, v7, v6
	v_fmac_f32_e32 v7, v8, v1
	v_fma_f32 v0, -v0, v7, v6
	v_div_fmas_f32 v0, v0, v1, v7
	v_div_fixup_f32 v0, v0, v4, v5
	global_store_dword v[2:3], v0, off
.LBB2_6:
	s_endpgm
	.section	.rodata,"a",@progbits
	.p2align	6, 0x0
	.amdhsa_kernel _ZL33flash_attn_stream_k_fixup_uniformILi64ELi1ELi1EEvPfPK15HIP_vector_typeIfLj2EEiiiiiiS1_IjLj3EES5_S5_
		.amdhsa_group_segment_fixed_size 0
		.amdhsa_private_segment_fixed_size 0
		.amdhsa_kernarg_size 76
		.amdhsa_user_sgpr_count 2
		.amdhsa_user_sgpr_dispatch_ptr 0
		.amdhsa_user_sgpr_queue_ptr 0
		.amdhsa_user_sgpr_kernarg_segment_ptr 1
		.amdhsa_user_sgpr_dispatch_id 0
		.amdhsa_user_sgpr_kernarg_preload_length 0
		.amdhsa_user_sgpr_kernarg_preload_offset 0
		.amdhsa_user_sgpr_private_segment_size 0
		.amdhsa_uses_dynamic_stack 0
		.amdhsa_enable_private_segment 0
		.amdhsa_system_sgpr_workgroup_id_x 1
		.amdhsa_system_sgpr_workgroup_id_y 1
		.amdhsa_system_sgpr_workgroup_id_z 1
		.amdhsa_system_sgpr_workgroup_info 0
		.amdhsa_system_vgpr_workitem_id 0
		.amdhsa_next_free_vgpr 17
		.amdhsa_next_free_sgpr 20
		.amdhsa_accum_offset 20
		.amdhsa_reserve_vcc 1
		.amdhsa_float_round_mode_32 0
		.amdhsa_float_round_mode_16_64 0
		.amdhsa_float_denorm_mode_32 3
		.amdhsa_float_denorm_mode_16_64 3
		.amdhsa_dx10_clamp 1
		.amdhsa_ieee_mode 1
		.amdhsa_fp16_overflow 0
		.amdhsa_tg_split 0
		.amdhsa_exception_fp_ieee_invalid_op 0
		.amdhsa_exception_fp_denorm_src 0
		.amdhsa_exception_fp_ieee_div_zero 0
		.amdhsa_exception_fp_ieee_overflow 0
		.amdhsa_exception_fp_ieee_underflow 0
		.amdhsa_exception_fp_ieee_inexact 0
		.amdhsa_exception_int_div_zero 0
	.end_amdhsa_kernel
	.section	.text._ZL33flash_attn_stream_k_fixup_uniformILi64ELi1ELi1EEvPfPK15HIP_vector_typeIfLj2EEiiiiiiS1_IjLj3EES5_S5_,"axG",@progbits,_ZL33flash_attn_stream_k_fixup_uniformILi64ELi1ELi1EEvPfPK15HIP_vector_typeIfLj2EEiiiiiiS1_IjLj3EES5_S5_,comdat
.Lfunc_end2:
	.size	_ZL33flash_attn_stream_k_fixup_uniformILi64ELi1ELi1EEvPfPK15HIP_vector_typeIfLj2EEiiiiiiS1_IjLj3EES5_S5_, .Lfunc_end2-_ZL33flash_attn_stream_k_fixup_uniformILi64ELi1ELi1EEvPfPK15HIP_vector_typeIfLj2EEiiiiiiS1_IjLj3EES5_S5_
                                        ; -- End function
	.set _ZL33flash_attn_stream_k_fixup_uniformILi64ELi1ELi1EEvPfPK15HIP_vector_typeIfLj2EEiiiiiiS1_IjLj3EES5_S5_.num_vgpr, 17
	.set _ZL33flash_attn_stream_k_fixup_uniformILi64ELi1ELi1EEvPfPK15HIP_vector_typeIfLj2EEiiiiiiS1_IjLj3EES5_S5_.num_agpr, 0
	.set _ZL33flash_attn_stream_k_fixup_uniformILi64ELi1ELi1EEvPfPK15HIP_vector_typeIfLj2EEiiiiiiS1_IjLj3EES5_S5_.numbered_sgpr, 20
	.set _ZL33flash_attn_stream_k_fixup_uniformILi64ELi1ELi1EEvPfPK15HIP_vector_typeIfLj2EEiiiiiiS1_IjLj3EES5_S5_.num_named_barrier, 0
	.set _ZL33flash_attn_stream_k_fixup_uniformILi64ELi1ELi1EEvPfPK15HIP_vector_typeIfLj2EEiiiiiiS1_IjLj3EES5_S5_.private_seg_size, 0
	.set _ZL33flash_attn_stream_k_fixup_uniformILi64ELi1ELi1EEvPfPK15HIP_vector_typeIfLj2EEiiiiiiS1_IjLj3EES5_S5_.uses_vcc, 1
	.set _ZL33flash_attn_stream_k_fixup_uniformILi64ELi1ELi1EEvPfPK15HIP_vector_typeIfLj2EEiiiiiiS1_IjLj3EES5_S5_.uses_flat_scratch, 0
	.set _ZL33flash_attn_stream_k_fixup_uniformILi64ELi1ELi1EEvPfPK15HIP_vector_typeIfLj2EEiiiiiiS1_IjLj3EES5_S5_.has_dyn_sized_stack, 0
	.set _ZL33flash_attn_stream_k_fixup_uniformILi64ELi1ELi1EEvPfPK15HIP_vector_typeIfLj2EEiiiiiiS1_IjLj3EES5_S5_.has_recursion, 0
	.set _ZL33flash_attn_stream_k_fixup_uniformILi64ELi1ELi1EEvPfPK15HIP_vector_typeIfLj2EEiiiiiiS1_IjLj3EES5_S5_.has_indirect_call, 0
	.section	.AMDGPU.csdata,"",@progbits
; Kernel info:
; codeLenInByte = 752
; TotalNumSgprs: 26
; NumVgprs: 17
; NumAgprs: 0
; TotalNumVgprs: 17
; ScratchSize: 0
; MemoryBound: 0
; FloatMode: 240
; IeeeMode: 1
; LDSByteSize: 0 bytes/workgroup (compile time only)
; SGPRBlocks: 3
; VGPRBlocks: 2
; NumSGPRsForWavesPerEU: 26
; NumVGPRsForWavesPerEU: 17
; AccumOffset: 20
; Occupancy: 8
; WaveLimiterHint : 0
; COMPUTE_PGM_RSRC2:SCRATCH_EN: 0
; COMPUTE_PGM_RSRC2:USER_SGPR: 2
; COMPUTE_PGM_RSRC2:TRAP_HANDLER: 0
; COMPUTE_PGM_RSRC2:TGID_X_EN: 1
; COMPUTE_PGM_RSRC2:TGID_Y_EN: 1
; COMPUTE_PGM_RSRC2:TGID_Z_EN: 1
; COMPUTE_PGM_RSRC2:TIDIG_COMP_CNT: 0
; COMPUTE_PGM_RSRC3_GFX90A:ACCUM_OFFSET: 4
; COMPUTE_PGM_RSRC3_GFX90A:TG_SPLIT: 0
	.section	.text._ZL33flash_attn_stream_k_fixup_generalILi64ELi1ELi1EEvPfPK15HIP_vector_typeIfLj2EEiiiiS1_IjLj3EES5_S5_S5_,"axG",@progbits,_ZL33flash_attn_stream_k_fixup_generalILi64ELi1ELi1EEvPfPK15HIP_vector_typeIfLj2EEiiiiS1_IjLj3EES5_S5_S5_,comdat
	.globl	_ZL33flash_attn_stream_k_fixup_generalILi64ELi1ELi1EEvPfPK15HIP_vector_typeIfLj2EEiiiiS1_IjLj3EES5_S5_S5_ ; -- Begin function _ZL33flash_attn_stream_k_fixup_generalILi64ELi1ELi1EEvPfPK15HIP_vector_typeIfLj2EEiiiiS1_IjLj3EES5_S5_S5_
	.p2align	8
	.type	_ZL33flash_attn_stream_k_fixup_generalILi64ELi1ELi1EEvPfPK15HIP_vector_typeIfLj2EEiiiiS1_IjLj3EES5_S5_S5_,@function
_ZL33flash_attn_stream_k_fixup_generalILi64ELi1ELi1EEvPfPK15HIP_vector_typeIfLj2EEiiiiS1_IjLj3EES5_S5_S5_: ; @_ZL33flash_attn_stream_k_fixup_generalILi64ELi1ELi1EEvPfPK15HIP_vector_typeIfLj2EEiiiiS1_IjLj3EES5_S5_S5_
; %bb.0:
	s_load_dwordx4 s[8:11], s[0:1], 0x10
	s_load_dword s22, s[0:1], 0x50
	s_mov_b32 s12, 0
	s_waitcnt lgkmcnt(0)
	s_mul_hi_i32 s13, s11, s2
	s_cmp_lg_u64 s[12:13], 0
	s_mul_i32 s5, s11, s2
	s_cbranch_scc0 .LBB3_20
; %bb.1:
	s_add_u32 s6, s22, 0
	s_addc_u32 s7, 0, 0
	s_xor_b64 s[6:7], s[6:7], 0
	v_cvt_f32_u32_e32 v1, s6
	v_cvt_f32_u32_e32 v2, s7
	s_sub_u32 s12, 0, s6
	s_subb_u32 s18, 0, s7
	v_fmamk_f32 v1, v2, 0x4f800000, v1
	v_rcp_f32_e32 v1, v1
	s_nop 0
	v_mul_f32_e32 v1, 0x5f7ffffc, v1
	v_mul_f32_e32 v2, 0x2f800000, v1
	v_trunc_f32_e32 v2, v2
	v_fmamk_f32 v1, v2, 0xcf800000, v1
	v_cvt_u32_f32_e32 v2, v2
	v_cvt_u32_f32_e32 v1, v1
	v_readfirstlane_b32 s19, v2
	v_readfirstlane_b32 s14, v1
	s_mul_i32 s15, s12, s19
	s_mul_hi_u32 s21, s12, s14
	s_mul_i32 s20, s18, s14
	s_add_i32 s15, s21, s15
	s_add_i32 s15, s15, s20
	s_mul_i32 s23, s12, s14
	s_mul_i32 s21, s14, s15
	s_mul_hi_u32 s24, s14, s23
	s_mul_hi_u32 s20, s14, s15
	s_add_u32 s21, s24, s21
	s_addc_u32 s20, 0, s20
	s_mul_hi_u32 s25, s19, s23
	s_mul_i32 s23, s19, s23
	s_add_u32 s21, s21, s23
	s_mul_hi_u32 s24, s19, s15
	s_addc_u32 s20, s20, s25
	s_addc_u32 s21, s24, 0
	s_mul_i32 s15, s19, s15
	s_add_u32 s15, s20, s15
	s_addc_u32 s20, 0, s21
	s_add_u32 s21, s14, s15
	s_cselect_b64 s[14:15], -1, 0
	s_cmp_lg_u64 s[14:15], 0
	s_addc_u32 s19, s19, s20
	s_mul_i32 s14, s12, s19
	s_mul_hi_u32 s15, s12, s21
	s_add_i32 s14, s15, s14
	s_mul_i32 s18, s18, s21
	s_add_i32 s14, s14, s18
	s_mul_i32 s12, s12, s21
	s_mul_hi_u32 s18, s19, s12
	s_mul_i32 s20, s19, s12
	s_mul_i32 s24, s21, s14
	s_mul_hi_u32 s12, s21, s12
	s_mul_hi_u32 s23, s21, s14
	s_add_u32 s12, s12, s24
	s_addc_u32 s23, 0, s23
	s_add_u32 s12, s12, s20
	s_mul_hi_u32 s15, s19, s14
	s_addc_u32 s12, s23, s18
	s_addc_u32 s15, s15, 0
	s_mul_i32 s14, s19, s14
	s_add_u32 s12, s12, s14
	s_addc_u32 s18, 0, s15
	s_add_u32 s20, s21, s12
	s_cselect_b64 s[14:15], -1, 0
	s_cmp_lg_u64 s[14:15], 0
	s_addc_u32 s18, s19, s18
	s_ashr_i32 s14, s13, 31
	s_add_u32 s12, s5, s14
	s_mov_b32 s15, s14
	s_addc_u32 s13, s13, s14
	s_xor_b64 s[12:13], s[12:13], s[14:15]
	s_mul_i32 s21, s12, s18
	s_mul_hi_u32 s23, s12, s20
	s_mul_hi_u32 s19, s12, s18
	s_add_u32 s21, s23, s21
	s_addc_u32 s19, 0, s19
	s_mul_hi_u32 s24, s13, s20
	s_mul_i32 s20, s13, s20
	s_add_u32 s20, s21, s20
	s_mul_hi_u32 s23, s13, s18
	s_addc_u32 s19, s19, s24
	s_addc_u32 s20, s23, 0
	s_mul_i32 s18, s13, s18
	s_add_u32 s23, s19, s18
	s_addc_u32 s24, 0, s20
	s_mul_i32 s18, s6, s24
	s_mul_hi_u32 s19, s6, s23
	s_add_i32 s18, s19, s18
	s_mul_i32 s19, s7, s23
	s_add_i32 s25, s18, s19
	s_sub_i32 s20, s13, s25
	s_mul_i32 s18, s6, s23
	s_sub_u32 s12, s12, s18
	s_cselect_b64 s[18:19], -1, 0
	s_cmp_lg_u64 s[18:19], 0
	s_subb_u32 s26, s20, s7
	s_sub_u32 s27, s12, s6
	s_cselect_b64 s[20:21], -1, 0
	s_cmp_lg_u64 s[20:21], 0
	s_subb_u32 s20, s26, 0
	s_cmp_ge_u32 s20, s7
	s_cselect_b32 s21, -1, 0
	s_cmp_ge_u32 s27, s6
	s_cselect_b32 s26, -1, 0
	s_cmp_eq_u32 s20, s7
	s_cselect_b32 s20, s26, s21
	s_add_u32 s21, s23, 1
	s_addc_u32 s26, s24, 0
	s_add_u32 s27, s23, 2
	s_addc_u32 s28, s24, 0
	s_cmp_lg_u32 s20, 0
	s_cselect_b32 s20, s27, s21
	s_cselect_b32 s21, s28, s26
	s_cmp_lg_u64 s[18:19], 0
	s_subb_u32 s13, s13, s25
	s_cmp_ge_u32 s13, s7
	s_cselect_b32 s18, -1, 0
	s_cmp_ge_u32 s12, s6
	s_cselect_b32 s6, -1, 0
	s_cmp_eq_u32 s13, s7
	s_cselect_b32 s6, s6, s18
	s_cmp_lg_u32 s6, 0
	s_cselect_b32 s7, s21, s24
	s_cselect_b32 s6, s20, s23
	s_xor_b64 s[12:13], s[14:15], 0
	s_xor_b64 s[6:7], s[6:7], s[12:13]
	s_sub_u32 s6, s6, s12
	s_load_dwordx4 s[12:15], s[0:1], 0x44
	s_cbranch_execnz .LBB3_3
.LBB3_2:
	v_cvt_f32_u32_e32 v1, s22
	s_sub_i32 s6, 0, s22
	v_rcp_iflag_f32_e32 v1, v1
	s_nop 0
	v_mul_f32_e32 v1, 0x4f7ffffe, v1
	v_cvt_u32_f32_e32 v1, v1
	s_nop 0
	v_readfirstlane_b32 s7, v1
	s_mul_i32 s6, s6, s7
	s_mul_hi_u32 s6, s7, s6
	s_add_i32 s7, s7, s6
	s_mul_hi_u32 s6, s5, s7
	s_waitcnt lgkmcnt(0)
	s_mul_i32 s15, s6, s22
	s_sub_i32 s5, s5, s15
	s_add_i32 s7, s6, 1
	s_sub_i32 s15, s5, s22
	s_cmp_ge_u32 s5, s22
	s_cselect_b32 s6, s7, s6
	s_cselect_b32 s5, s15, s5
	s_add_i32 s7, s6, 1
	s_cmp_ge_u32 s5, s22
	s_cselect_b32 s6, s7, s6
.LBB3_3:
	s_add_i32 s5, s2, 1
	s_mul_hi_i32 s21, s11, s5
	s_mov_b32 s20, 0
	s_cmp_lg_u64 s[20:21], 0
	s_mul_i32 s5, s11, s5
	s_cbranch_scc0 .LBB3_21
; %bb.4:
	s_add_u32 s16, s22, 0
	s_addc_u32 s17, 0, 0
	s_xor_b64 s[18:19], s[16:17], 0
	v_cvt_f32_u32_e32 v1, s18
	v_cvt_f32_u32_e32 v2, s19
	s_sub_u32 s7, 0, s18
	s_waitcnt lgkmcnt(0)
	s_subb_u32 s15, 0, s19
	v_fmamk_f32 v1, v2, 0x4f800000, v1
	v_rcp_f32_e32 v1, v1
	s_nop 0
	v_mul_f32_e32 v1, 0x5f7ffffc, v1
	v_mul_f32_e32 v2, 0x2f800000, v1
	v_trunc_f32_e32 v2, v2
	v_fmamk_f32 v1, v2, 0xcf800000, v1
	v_cvt_u32_f32_e32 v2, v2
	v_cvt_u32_f32_e32 v1, v1
	v_readfirstlane_b32 s20, v2
	v_readfirstlane_b32 s23, v1
	s_mul_i32 s24, s7, s20
	s_mul_hi_u32 s26, s7, s23
	s_mul_i32 s25, s15, s23
	s_add_i32 s24, s26, s24
	s_add_i32 s24, s24, s25
	s_mul_i32 s27, s7, s23
	s_mul_i32 s26, s23, s24
	s_mul_hi_u32 s28, s23, s27
	s_mul_hi_u32 s25, s23, s24
	s_add_u32 s26, s28, s26
	s_addc_u32 s25, 0, s25
	s_mul_hi_u32 s29, s20, s27
	s_mul_i32 s27, s20, s27
	s_add_u32 s26, s26, s27
	s_mul_hi_u32 s28, s20, s24
	s_addc_u32 s25, s25, s29
	s_addc_u32 s26, s28, 0
	s_mul_i32 s24, s20, s24
	s_add_u32 s24, s25, s24
	s_addc_u32 s26, 0, s26
	s_add_u32 s23, s23, s24
	s_cselect_b64 s[24:25], -1, 0
	s_cmp_lg_u64 s[24:25], 0
	s_addc_u32 s20, s20, s26
	s_mul_i32 s24, s7, s20
	s_mul_hi_u32 s25, s7, s23
	s_add_i32 s24, s25, s24
	s_mul_i32 s15, s15, s23
	s_add_i32 s24, s24, s15
	s_mul_i32 s7, s7, s23
	s_mul_hi_u32 s25, s20, s7
	s_mul_i32 s26, s20, s7
	s_mul_i32 s28, s23, s24
	s_mul_hi_u32 s7, s23, s7
	s_mul_hi_u32 s27, s23, s24
	s_add_u32 s7, s7, s28
	s_addc_u32 s27, 0, s27
	s_add_u32 s7, s7, s26
	s_mul_hi_u32 s15, s20, s24
	s_addc_u32 s7, s27, s25
	s_addc_u32 s15, s15, 0
	s_mul_i32 s24, s20, s24
	s_add_u32 s7, s7, s24
	s_addc_u32 s15, 0, s15
	s_add_u32 s7, s23, s7
	s_cselect_b64 s[24:25], -1, 0
	s_cmp_lg_u64 s[24:25], 0
	s_addc_u32 s15, s20, s15
	s_ashr_i32 s24, s21, 31
	s_add_u32 s20, s5, s24
	s_mov_b32 s25, s24
	s_addc_u32 s21, s21, s24
	s_xor_b64 s[20:21], s[20:21], s[24:25]
	s_mul_i32 s26, s20, s15
	s_mul_hi_u32 s27, s20, s7
	s_mul_hi_u32 s23, s20, s15
	s_add_u32 s26, s27, s26
	s_addc_u32 s23, 0, s23
	s_mul_hi_u32 s28, s21, s7
	s_mul_i32 s7, s21, s7
	s_add_u32 s7, s26, s7
	s_mul_hi_u32 s27, s21, s15
	s_addc_u32 s7, s23, s28
	s_addc_u32 s23, s27, 0
	s_mul_i32 s15, s21, s15
	s_add_u32 s7, s7, s15
	s_addc_u32 s15, 0, s23
	s_mul_i32 s23, s18, s15
	s_mul_hi_u32 s26, s18, s7
	s_add_i32 s23, s26, s23
	s_mul_i32 s26, s19, s7
	s_add_i32 s23, s23, s26
	s_sub_i32 s28, s21, s23
	s_mul_i32 s26, s18, s7
	s_sub_u32 s20, s20, s26
	s_cselect_b64 s[26:27], -1, 0
	s_cmp_lg_u64 s[26:27], 0
	s_subb_u32 s30, s28, s19
	s_sub_u32 s31, s20, s18
	s_cselect_b64 s[28:29], -1, 0
	s_cmp_lg_u64 s[28:29], 0
	s_subb_u32 s28, s30, 0
	s_cmp_ge_u32 s28, s19
	s_cselect_b32 s29, -1, 0
	s_cmp_ge_u32 s31, s18
	s_cselect_b32 s30, -1, 0
	s_cmp_eq_u32 s28, s19
	s_cselect_b32 s28, s30, s29
	s_add_u32 s29, s7, 1
	s_addc_u32 s30, s15, 0
	s_add_u32 s31, s7, 2
	s_addc_u32 s33, s15, 0
	s_cmp_lg_u32 s28, 0
	s_cselect_b32 s28, s31, s29
	s_cselect_b32 s29, s33, s30
	s_cmp_lg_u64 s[26:27], 0
	s_subb_u32 s21, s21, s23
	s_cmp_ge_u32 s21, s19
	s_cselect_b32 s23, -1, 0
	s_cmp_ge_u32 s20, s18
	s_cselect_b32 s18, -1, 0
	s_cmp_eq_u32 s21, s19
	s_cselect_b32 s18, s18, s23
	s_cmp_lg_u32 s18, 0
	s_cselect_b32 s19, s29, s15
	s_cselect_b32 s18, s28, s7
	s_xor_b64 s[20:21], s[24:25], 0
	s_xor_b64 s[18:19], s[18:19], s[20:21]
	s_sub_u32 s18, s18, s20
	s_cbranch_execnz .LBB3_6
.LBB3_5:
	v_cvt_f32_u32_e32 v1, s22
	s_sub_i32 s7, 0, s22
	v_rcp_iflag_f32_e32 v1, v1
	s_nop 0
	v_mul_f32_e32 v1, 0x4f7ffffe, v1
	v_cvt_u32_f32_e32 v1, v1
	s_waitcnt lgkmcnt(0)
	v_readfirstlane_b32 s15, v1
	s_mul_i32 s7, s7, s15
	s_mul_hi_u32 s7, s15, s7
	s_add_i32 s15, s15, s7
	s_mul_hi_u32 s7, s5, s15
	s_mul_i32 s16, s7, s22
	s_sub_i32 s5, s5, s16
	s_add_i32 s15, s7, 1
	s_sub_i32 s16, s5, s22
	s_cmp_ge_u32 s5, s22
	s_cselect_b32 s7, s15, s7
	s_cselect_b32 s5, s16, s5
	s_add_i32 s15, s7, 1
	s_cmp_ge_u32 s5, s22
	s_cselect_b32 s18, s15, s7
.LBB3_6:
	s_cmp_eq_u32 s6, s18
	s_waitcnt lgkmcnt(0)
	s_mul_hi_u32 s5, s6, s12
	s_cselect_b64 s[16:17], -1, 0
	s_add_i32 s5, s5, s6
	s_lshr_b32 s7, s5, s13
	s_mul_i32 s5, s7, s14
	s_cmp_eq_u32 s5, s6
	s_mul_hi_u32 s5, s18, s12
	s_cselect_b64 s[20:21], -1, 0
	s_add_i32 s5, s5, s18
	s_lshr_b32 s5, s5, s13
	s_cmp_eq_u32 s7, s5
	s_mul_i32 s5, s5, s14
	s_cselect_b64 s[24:25], -1, 0
	s_cmp_lg_u32 s5, s18
	s_cselect_b64 s[18:19], -1, 0
	s_and_b64 s[18:19], s[24:25], s[18:19]
	s_or_b64 s[16:17], s[16:17], s[20:21]
	s_or_b64 s[16:17], s[16:17], s[18:19]
	s_and_b64 vcc, exec, s[16:17]
	s_cbranch_vccnz .LBB3_23
; %bb.7:
	s_load_dwordx8 s[24:31], s[0:1], 0x20
	s_load_dword s5, s[0:1], 0x40
	s_waitcnt lgkmcnt(0)
	s_mul_hi_u32 s15, s6, s24
	s_add_i32 s15, s15, s6
	s_lshr_b32 s20, s15, s25
	s_mul_i32 s15, s20, s26
	s_sub_i32 s15, s6, s15
	s_mul_hi_u32 s16, s15, s27
	s_add_i32 s16, s15, s16
	s_lshr_b32 s21, s16, s28
	s_mul_i32 s16, s21, s29
	s_sub_i32 s15, s15, s16
	;; [unrolled: 5-line block ×3, first 2 shown]
	s_mul_hi_u32 s15, s5, s12
	s_add_i32 s5, s5, s15
	s_lshr_b32 s23, s5, s13
	s_add_i32 s23, s23, s3
	s_cmp_lt_i32 s23, s8
	s_cselect_b64 s[16:17], -1, 0
	s_add_i32 s24, s24, s4
	s_cmp_lt_i32 s24, s10
	s_cselect_b64 s[18:19], -1, 0
	s_and_b64 s[16:17], s[16:17], s[18:19]
	s_andn2_b64 vcc, exec, s[16:17]
	s_cbranch_vccnz .LBB3_23
; %bb.8:
	s_load_dwordx4 s[16:19], s[0:1], 0x0
	s_mov_b32 s0, 0
	s_add_i32 s15, s3, s4
	s_lshl_b32 s4, s22, 2
	s_mov_b32 s5, s0
	s_lshl_b64 s[4:5], s[4:5], 2
	s_waitcnt lgkmcnt(0)
	s_add_u32 s4, s18, s4
	s_mul_i32 s20, s20, s8
	s_addc_u32 s5, s19, s5
	s_mul_i32 s21, s21, s10
	s_add_i32 s1, s23, s20
	s_mul_i32 s1, s1, s9
	s_add_i32 s3, s24, s21
	s_add_i32 s3, s3, s1
	v_lshl_or_b32 v4, s3, 6, v0
	v_mov_b32_e32 v2, s16
	v_mov_b32_e32 v3, s17
	v_ashrrev_i32_e32 v5, 31, v4
	v_lshl_add_u64 v[2:3], v[4:5], 2, v[2:3]
	global_load_dword v5, v[2:3], off
	v_cvt_f32_u32_e32 v1, s22
	s_add_i32 s8, s15, s2
	s_ashr_i32 s9, s8, 31
	s_lshl_b64 s[8:9], s[8:9], 3
	v_rcp_iflag_f32_e32 v1, v1
	s_add_u32 s8, s18, s8
	s_addc_u32 s9, s19, s9
	s_load_dwordx2 s[8:9], s[8:9], 0x0
	v_mul_f32_e32 v1, 0x4f7ffffe, v1
	v_cvt_u32_f32_e32 v1, v1
	s_add_i32 s24, s2, -1
	s_mov_b32 s10, 0x3fb8aa3b
	s_waitcnt lgkmcnt(0)
	v_mov_b32_e32 v4, s9
	v_mov_b32_e32 v9, s8
	s_mov_b32 s20, 0xc2ce8ed0
	s_mov_b32 s21, 0x42b17218
	;; [unrolled: 1-line block ×3, first 2 shown]
	v_mov_b32_e32 v8, 0x7f800000
	s_mul_hi_i32 s1, s24, s11
	s_cmp_lg_u64 s[0:1], 0
	s_mul_i32 s16, s24, s11
	s_cbranch_scc0 .LBB3_19
.LBB3_9:
	s_add_u32 s2, s22, 0
	s_addc_u32 s3, 0, 0
	s_xor_b64 s[2:3], s[2:3], 0
	v_cvt_f32_u32_e32 v6, s2
	v_cvt_f32_u32_e32 v7, s3
	s_sub_u32 s17, 0, s2
	s_subb_u32 s25, 0, s3
	v_fmac_f32_e32 v6, 0x4f800000, v7
	v_rcp_f32_e32 v6, v6
	s_nop 0
	v_mul_f32_e32 v6, 0x5f7ffffc, v6
	v_mul_f32_e32 v7, 0x2f800000, v6
	v_trunc_f32_e32 v7, v7
	v_fmac_f32_e32 v6, 0xcf800000, v7
	v_cvt_u32_f32_e32 v7, v7
	v_cvt_u32_f32_e32 v6, v6
	v_readfirstlane_b32 s26, v7
	v_readfirstlane_b32 s8, v6
	s_mul_i32 s9, s17, s26
	s_mul_hi_u32 s28, s17, s8
	s_mul_i32 s27, s25, s8
	s_add_i32 s9, s28, s9
	s_mul_i32 s29, s17, s8
	s_add_i32 s9, s9, s27
	s_mul_i32 s28, s8, s9
	s_mul_hi_u32 s30, s8, s29
	s_mul_hi_u32 s27, s8, s9
	s_add_u32 s28, s30, s28
	s_addc_u32 s27, 0, s27
	s_mul_hi_u32 s31, s26, s29
	s_mul_i32 s29, s26, s29
	s_add_u32 s28, s28, s29
	s_mul_hi_u32 s30, s26, s9
	s_addc_u32 s27, s27, s31
	s_addc_u32 s28, s30, 0
	s_mul_i32 s9, s26, s9
	s_add_u32 s9, s27, s9
	s_addc_u32 s27, 0, s28
	s_add_u32 s28, s8, s9
	s_cselect_b64 s[8:9], -1, 0
	s_cmp_lg_u64 s[8:9], 0
	s_addc_u32 s26, s26, s27
	s_mul_i32 s8, s17, s26
	s_mul_hi_u32 s9, s17, s28
	s_add_i32 s8, s9, s8
	s_mul_i32 s25, s25, s28
	s_add_i32 s8, s8, s25
	s_mul_i32 s17, s17, s28
	s_mul_hi_u32 s25, s26, s17
	s_mul_i32 s27, s26, s17
	s_mul_i32 s30, s28, s8
	s_mul_hi_u32 s17, s28, s17
	s_mul_hi_u32 s29, s28, s8
	s_add_u32 s17, s17, s30
	s_addc_u32 s29, 0, s29
	s_add_u32 s17, s17, s27
	s_mul_hi_u32 s9, s26, s8
	s_addc_u32 s17, s29, s25
	s_addc_u32 s9, s9, 0
	s_mul_i32 s8, s26, s8
	s_add_u32 s8, s17, s8
	s_addc_u32 s17, 0, s9
	s_add_u32 s25, s28, s8
	s_cselect_b64 s[8:9], -1, 0
	s_cmp_lg_u64 s[8:9], 0
	s_addc_u32 s17, s26, s17
	s_ashr_i32 s8, s1, 31
	s_add_u32 s26, s16, s8
	s_mov_b32 s9, s8
	s_addc_u32 s27, s1, s8
	s_xor_b64 s[26:27], s[26:27], s[8:9]
	s_mul_i32 s28, s26, s17
	s_mul_hi_u32 s29, s26, s25
	s_mul_hi_u32 s1, s26, s17
	s_add_u32 s28, s29, s28
	s_addc_u32 s1, 0, s1
	s_mul_hi_u32 s30, s27, s25
	s_mul_i32 s25, s27, s25
	s_add_u32 s25, s28, s25
	s_mul_hi_u32 s29, s27, s17
	s_addc_u32 s1, s1, s30
	s_addc_u32 s25, s29, 0
	s_mul_i32 s17, s27, s17
	s_add_u32 s1, s1, s17
	s_addc_u32 s17, 0, s25
	s_mul_i32 s25, s2, s17
	s_mul_hi_u32 s28, s2, s1
	s_add_i32 s25, s28, s25
	s_mul_i32 s28, s3, s1
	s_add_i32 s25, s25, s28
	s_sub_i32 s30, s27, s25
	s_mul_i32 s28, s2, s1
	s_sub_u32 s26, s26, s28
	s_cselect_b64 s[28:29], -1, 0
	s_cmp_lg_u64 s[28:29], 0
	s_subb_u32 s33, s30, s3
	s_sub_u32 s34, s26, s2
	s_cselect_b64 s[30:31], -1, 0
	s_cmp_lg_u64 s[30:31], 0
	s_subb_u32 s30, s33, 0
	s_cmp_ge_u32 s30, s3
	s_cselect_b32 s31, -1, 0
	s_cmp_ge_u32 s34, s2
	s_cselect_b32 s33, -1, 0
	s_cmp_eq_u32 s30, s3
	s_cselect_b32 s30, s33, s31
	s_add_u32 s31, s1, 1
	s_addc_u32 s33, s17, 0
	s_add_u32 s34, s1, 2
	s_addc_u32 s35, s17, 0
	s_cmp_lg_u32 s30, 0
	s_cselect_b32 s30, s34, s31
	s_cselect_b32 s31, s35, s33
	s_cmp_lg_u64 s[28:29], 0
	s_subb_u32 s25, s27, s25
	s_cmp_ge_u32 s25, s3
	s_cselect_b32 s27, -1, 0
	s_cmp_ge_u32 s26, s2
	s_cselect_b32 s2, -1, 0
	s_cmp_eq_u32 s25, s3
	s_cselect_b32 s2, s2, s27
	s_cmp_lg_u32 s2, 0
	s_cselect_b32 s3, s31, s17
	s_cselect_b32 s2, s30, s1
	s_xor_b64 s[8:9], s[8:9], 0
	s_xor_b64 s[2:3], s[2:3], s[8:9]
	s_sub_u32 s8, s2, s8
	s_cbranch_execnz .LBB3_11
.LBB3_10:
	s_sub_i32 s1, 0, s22
	v_readfirstlane_b32 s2, v1
	s_mul_i32 s1, s1, s2
	s_mul_hi_u32 s1, s2, s1
	s_add_i32 s2, s2, s1
	s_mul_hi_u32 s1, s16, s2
	s_mul_i32 s3, s1, s22
	s_sub_i32 s3, s16, s3
	s_add_i32 s2, s1, 1
	s_sub_i32 s8, s3, s22
	s_cmp_ge_u32 s3, s22
	s_cselect_b32 s1, s2, s1
	s_cselect_b32 s3, s8, s3
	s_add_i32 s2, s1, 1
	s_cmp_ge_u32 s3, s22
	s_cselect_b32 s8, s2, s1
.LBB3_11:
	s_cmp_lg_u32 s6, s8
	s_cbranch_scc0 .LBB3_15
; %bb.12:
	s_add_i32 s9, s24, s15
	s_add_i32 s2, s9, s22
	s_mov_b32 s3, s0
	s_lshl_b64 s[2:3], s[2:3], 3
	s_add_u32 s16, s18, s2
	s_mul_hi_u32 s1, s8, s12
	s_addc_u32 s17, s19, s3
	s_add_i32 s1, s1, s8
	s_lshr_b32 s1, s1, s13
	s_mul_i32 s2, s1, s14
	s_cmp_eq_u32 s2, s8
	s_cselect_b64 s[2:3], -1, 0
	s_cmp_lt_u32 s1, s7
	s_cselect_b64 s[26:27], -1, 0
	s_or_b64 s[26:27], s[26:27], s[2:3]
	s_mov_b64 s[2:3], -1
	s_and_b64 vcc, exec, s[26:27]
	s_mov_b32 s1, s24
	s_mov_b32 s25, s6
	s_cbranch_vccnz .LBB3_14
; %bb.13:
	s_add_i32 s1, s24, -1
	s_mov_b64 s[2:3], 0
	s_mov_b32 s25, s8
.LBB3_14:
	v_lshl_or_b32 v6, s9, 6, v0
	v_ashrrev_i32_e32 v7, 31, v6
	v_lshl_add_u64 v[6:7], v[6:7], 2, s[4:5]
	global_load_dword v7, v[6:7], off
	s_load_dwordx2 s[8:9], s[16:17], 0x0
	v_max_f32_e32 v6, v9, v9
	s_waitcnt lgkmcnt(0)
	v_max_f32_e64 v10, s8, s8
	v_max_f32_e32 v10, v6, v10
	v_sub_f32_e32 v11, v9, v10
	v_sub_f32_e32 v13, s8, v10
	v_mul_f32_e32 v6, 0x3fb8aa3b, v11
	v_mul_f32_e32 v12, 0x3fb8aa3b, v13
	v_fma_f32 v14, v11, s10, -v6
	v_rndne_f32_e32 v15, v6
	v_fma_f32 v16, v13, s10, -v12
	v_rndne_f32_e32 v17, v12
	v_fmac_f32_e32 v14, 0x32a5705f, v11
	v_sub_f32_e32 v6, v6, v15
	v_fmac_f32_e32 v16, 0x32a5705f, v13
	v_sub_f32_e32 v12, v12, v17
	v_add_f32_e32 v6, v6, v14
	v_cvt_i32_f32_e32 v15, v15
	v_add_f32_e32 v12, v12, v16
	v_exp_f32_e32 v14, v6
	v_cvt_i32_f32_e32 v17, v17
	v_exp_f32_e32 v12, v12
	v_cmp_ngt_f32_e32 vcc, s20, v11
	v_ldexp_f32 v14, v14, v15
	v_mov_b32_e32 v6, s9
	v_ldexp_f32 v12, v12, v17
	v_cndmask_b32_e32 v14, 0, v14, vcc
	v_cmp_ngt_f32_e32 vcc, s20, v13
	s_nop 1
	v_cndmask_b32_e32 v12, 0, v12, vcc
	v_cmp_nlt_f32_e32 vcc, s21, v11
	s_nop 1
	v_cndmask_b32_e32 v14, v8, v14, vcc
	v_cmp_nlt_f32_e32 vcc, s21, v13
	s_nop 1
	v_cndmask_b32_e32 v15, v8, v12, vcc
	v_cmp_le_f32_e32 vcc, s23, v11
	s_nop 1
	v_cndmask_b32_e32 v12, 0, v14, vcc
	v_cmp_le_f32_e32 vcc, s23, v13
	s_nop 1
	v_cndmask_b32_e32 v14, 0, v15, vcc
	s_waitcnt vmcnt(0)
	v_pk_mul_f32 v[6:7], v[6:7], v[14:15] op_sel_hi:[1,0]
	s_nop 0
	v_pk_fma_f32 v[6:7], v[4:5], v[12:13], v[6:7] op_sel_hi:[1,0,1]
	s_cbranch_execz .LBB3_16
	s_branch .LBB3_17
.LBB3_15:
                                        ; implicit-def: $vgpr6_vgpr7
                                        ; implicit-def: $sgpr2_sgpr3
                                        ; implicit-def: $vgpr10
                                        ; implicit-def: $sgpr1
                                        ; implicit-def: $sgpr25
.LBB3_16:
	s_add_i32 s1, s24, -1
	s_mov_b64 s[2:3], 0
	s_mov_b32 s25, s6
	v_mov_b32_e32 v10, v9
	s_waitcnt vmcnt(0)
	v_mov_b64_e32 v[6:7], v[4:5]
.LBB3_17:
	s_andn2_b64 vcc, exec, s[2:3]
	s_cbranch_vccz .LBB3_22
; %bb.18:
	s_mov_b32 s6, s25
	s_mov_b32 s24, s1
	v_mov_b32_e32 v9, v10
	s_waitcnt vmcnt(0)
	v_mov_b64_e32 v[4:5], v[6:7]
	s_mul_hi_i32 s1, s24, s11
	s_cmp_lg_u64 s[0:1], 0
	s_mul_i32 s16, s24, s11
	s_cbranch_scc1 .LBB3_9
.LBB3_19:
                                        ; implicit-def: $sgpr8_sgpr9
	s_branch .LBB3_10
.LBB3_20:
                                        ; implicit-def: $sgpr6_sgpr7
	s_load_dwordx4 s[12:15], s[0:1], 0x44
	s_branch .LBB3_2
.LBB3_21:
                                        ; implicit-def: $sgpr18_sgpr19
	s_branch .LBB3_5
.LBB3_22:
	v_div_scale_f32 v0, s[0:1], v6, v6, v7
	v_rcp_f32_e32 v1, v0
	v_div_scale_f32 v4, vcc, v7, v6, v7
	s_waitcnt vmcnt(0)
	v_fma_f32 v5, -v0, v1, 1.0
	v_fmac_f32_e32 v1, v5, v1
	v_mul_f32_e32 v5, v4, v1
	v_fma_f32 v8, -v0, v5, v4
	v_fmac_f32_e32 v5, v8, v1
	v_fma_f32 v0, -v0, v5, v4
	v_div_fmas_f32 v0, v0, v1, v5
	v_div_fixup_f32 v0, v0, v6, v7
	global_store_dword v[2:3], v0, off
.LBB3_23:
	s_endpgm
	.section	.rodata,"a",@progbits
	.p2align	6, 0x0
	.amdhsa_kernel _ZL33flash_attn_stream_k_fixup_generalILi64ELi1ELi1EEvPfPK15HIP_vector_typeIfLj2EEiiiiS1_IjLj3EES5_S5_S5_
		.amdhsa_group_segment_fixed_size 0
		.amdhsa_private_segment_fixed_size 0
		.amdhsa_kernarg_size 336
		.amdhsa_user_sgpr_count 2
		.amdhsa_user_sgpr_dispatch_ptr 0
		.amdhsa_user_sgpr_queue_ptr 0
		.amdhsa_user_sgpr_kernarg_segment_ptr 1
		.amdhsa_user_sgpr_dispatch_id 0
		.amdhsa_user_sgpr_kernarg_preload_length 0
		.amdhsa_user_sgpr_kernarg_preload_offset 0
		.amdhsa_user_sgpr_private_segment_size 0
		.amdhsa_uses_dynamic_stack 0
		.amdhsa_enable_private_segment 0
		.amdhsa_system_sgpr_workgroup_id_x 1
		.amdhsa_system_sgpr_workgroup_id_y 1
		.amdhsa_system_sgpr_workgroup_id_z 1
		.amdhsa_system_sgpr_workgroup_info 0
		.amdhsa_system_vgpr_workitem_id 0
		.amdhsa_next_free_vgpr 18
		.amdhsa_next_free_sgpr 36
		.amdhsa_accum_offset 20
		.amdhsa_reserve_vcc 1
		.amdhsa_float_round_mode_32 0
		.amdhsa_float_round_mode_16_64 0
		.amdhsa_float_denorm_mode_32 3
		.amdhsa_float_denorm_mode_16_64 3
		.amdhsa_dx10_clamp 1
		.amdhsa_ieee_mode 1
		.amdhsa_fp16_overflow 0
		.amdhsa_tg_split 0
		.amdhsa_exception_fp_ieee_invalid_op 0
		.amdhsa_exception_fp_denorm_src 0
		.amdhsa_exception_fp_ieee_div_zero 0
		.amdhsa_exception_fp_ieee_overflow 0
		.amdhsa_exception_fp_ieee_underflow 0
		.amdhsa_exception_fp_ieee_inexact 0
		.amdhsa_exception_int_div_zero 0
	.end_amdhsa_kernel
	.section	.text._ZL33flash_attn_stream_k_fixup_generalILi64ELi1ELi1EEvPfPK15HIP_vector_typeIfLj2EEiiiiS1_IjLj3EES5_S5_S5_,"axG",@progbits,_ZL33flash_attn_stream_k_fixup_generalILi64ELi1ELi1EEvPfPK15HIP_vector_typeIfLj2EEiiiiS1_IjLj3EES5_S5_S5_,comdat
.Lfunc_end3:
	.size	_ZL33flash_attn_stream_k_fixup_generalILi64ELi1ELi1EEvPfPK15HIP_vector_typeIfLj2EEiiiiS1_IjLj3EES5_S5_S5_, .Lfunc_end3-_ZL33flash_attn_stream_k_fixup_generalILi64ELi1ELi1EEvPfPK15HIP_vector_typeIfLj2EEiiiiS1_IjLj3EES5_S5_S5_
                                        ; -- End function
	.set _ZL33flash_attn_stream_k_fixup_generalILi64ELi1ELi1EEvPfPK15HIP_vector_typeIfLj2EEiiiiS1_IjLj3EES5_S5_S5_.num_vgpr, 18
	.set _ZL33flash_attn_stream_k_fixup_generalILi64ELi1ELi1EEvPfPK15HIP_vector_typeIfLj2EEiiiiS1_IjLj3EES5_S5_S5_.num_agpr, 0
	.set _ZL33flash_attn_stream_k_fixup_generalILi64ELi1ELi1EEvPfPK15HIP_vector_typeIfLj2EEiiiiS1_IjLj3EES5_S5_S5_.numbered_sgpr, 36
	.set _ZL33flash_attn_stream_k_fixup_generalILi64ELi1ELi1EEvPfPK15HIP_vector_typeIfLj2EEiiiiS1_IjLj3EES5_S5_S5_.num_named_barrier, 0
	.set _ZL33flash_attn_stream_k_fixup_generalILi64ELi1ELi1EEvPfPK15HIP_vector_typeIfLj2EEiiiiS1_IjLj3EES5_S5_S5_.private_seg_size, 0
	.set _ZL33flash_attn_stream_k_fixup_generalILi64ELi1ELi1EEvPfPK15HIP_vector_typeIfLj2EEiiiiS1_IjLj3EES5_S5_S5_.uses_vcc, 1
	.set _ZL33flash_attn_stream_k_fixup_generalILi64ELi1ELi1EEvPfPK15HIP_vector_typeIfLj2EEiiiiS1_IjLj3EES5_S5_S5_.uses_flat_scratch, 0
	.set _ZL33flash_attn_stream_k_fixup_generalILi64ELi1ELi1EEvPfPK15HIP_vector_typeIfLj2EEiiiiS1_IjLj3EES5_S5_S5_.has_dyn_sized_stack, 0
	.set _ZL33flash_attn_stream_k_fixup_generalILi64ELi1ELi1EEvPfPK15HIP_vector_typeIfLj2EEiiiiS1_IjLj3EES5_S5_S5_.has_recursion, 0
	.set _ZL33flash_attn_stream_k_fixup_generalILi64ELi1ELi1EEvPfPK15HIP_vector_typeIfLj2EEiiiiS1_IjLj3EES5_S5_S5_.has_indirect_call, 0
	.section	.AMDGPU.csdata,"",@progbits
; Kernel info:
; codeLenInByte = 2896
; TotalNumSgprs: 42
; NumVgprs: 18
; NumAgprs: 0
; TotalNumVgprs: 18
; ScratchSize: 0
; MemoryBound: 0
; FloatMode: 240
; IeeeMode: 1
; LDSByteSize: 0 bytes/workgroup (compile time only)
; SGPRBlocks: 5
; VGPRBlocks: 2
; NumSGPRsForWavesPerEU: 42
; NumVGPRsForWavesPerEU: 18
; AccumOffset: 20
; Occupancy: 8
; WaveLimiterHint : 0
; COMPUTE_PGM_RSRC2:SCRATCH_EN: 0
; COMPUTE_PGM_RSRC2:USER_SGPR: 2
; COMPUTE_PGM_RSRC2:TRAP_HANDLER: 0
; COMPUTE_PGM_RSRC2:TGID_X_EN: 1
; COMPUTE_PGM_RSRC2:TGID_Y_EN: 1
; COMPUTE_PGM_RSRC2:TGID_Z_EN: 1
; COMPUTE_PGM_RSRC2:TIDIG_COMP_CNT: 0
; COMPUTE_PGM_RSRC3_GFX90A:ACCUM_OFFSET: 4
; COMPUTE_PGM_RSRC3_GFX90A:TG_SPLIT: 0
	.section	.text._ZL26flash_attn_combine_resultsILi64EEvPKfPK15HIP_vector_typeIfLj2EEPfi,"axG",@progbits,_ZL26flash_attn_combine_resultsILi64EEvPKfPK15HIP_vector_typeIfLj2EEPfi,comdat
	.globl	_ZL26flash_attn_combine_resultsILi64EEvPKfPK15HIP_vector_typeIfLj2EEPfi ; -- Begin function _ZL26flash_attn_combine_resultsILi64EEvPKfPK15HIP_vector_typeIfLj2EEPfi
	.p2align	8
	.type	_ZL26flash_attn_combine_resultsILi64EEvPKfPK15HIP_vector_typeIfLj2EEPfi,@function
_ZL26flash_attn_combine_resultsILi64EEvPKfPK15HIP_vector_typeIfLj2EEPfi: ; @_ZL26flash_attn_combine_resultsILi64EEvPKfPK15HIP_vector_typeIfLj2EEPfi
; %bb.0:
	s_load_dwordx2 s[6:7], s[0:1], 0x20
	s_load_dword s19, s[0:1], 0x18
	s_load_dwordx4 s[8:11], s[0:1], 0x0
	s_load_dwordx2 s[14:15], s[0:1], 0x10
	s_waitcnt lgkmcnt(0)
	s_mul_i32 s0, s6, s4
	s_add_i32 s0, s0, s2
	s_mul_i32 s18, s0, s7
	s_add_i32 s18, s18, s3
	s_lshl_b32 s20, s19, 1
	s_mul_i32 s2, s18, s19
	v_cmp_gt_i32_e32 vcc, s20, v0
	s_and_saveexec_b64 s[0:1], vcc
	s_cbranch_execz .LBB4_13
; %bb.1:
	v_xad_u32 v1, v0, -1, s20
	s_ashr_i32 s3, s2, 31
	v_cmp_lt_u32_e32 vcc, 63, v1
	s_mov_b64 s[6:7], -1
	v_mov_b32_e32 v2, v0
	s_and_saveexec_b64 s[4:5], vcc
	s_cbranch_execz .LBB4_10
; %bb.2:
	v_lshrrev_b32_e32 v6, 6, v1
	s_lshl_b64 s[6:7], s[2:3], 3
	v_add_u32_e32 v2, -1, v6
	s_add_u32 s6, s10, s6
	v_or_b32_e32 v1, 64, v0
	v_lshrrev_b32_e32 v3, 1, v2
	s_addc_u32 s7, s11, s7
	s_mov_b32 s21, 0
	v_add_u32_e32 v7, 1, v3
	v_cmp_lt_u32_e32 vcc, 13, v2
	v_mov_b32_e32 v4, 0
	v_mov_b64_e32 v[2:3], v[0:1]
	s_and_saveexec_b64 s[12:13], vcc
	s_cbranch_execz .LBB4_6
; %bb.3:
	v_and_b32_e32 v8, -8, v7
	v_lshl_add_u32 v9, v0, 2, 0
	s_mov_b64 s[16:17], 0
	v_mov_b32_e32 v5, 0
	v_mov_b64_e32 v[2:3], v[0:1]
.LBB4_4:                                ; =>This Inner Loop Header: Depth=1
	v_mov_b32_e32 v4, v2
	v_lshl_add_u64 v[24:25], v[4:5], 2, s[6:7]
	v_mov_b32_e32 v4, v3
	v_add_u32_e32 v10, 0x80, v3
	v_mov_b32_e32 v11, v5
	v_lshl_add_u64 v[26:27], v[4:5], 2, s[6:7]
	v_add_u32_e32 v4, 0x80, v2
	v_lshl_add_u64 v[10:11], v[10:11], 2, s[6:7]
	global_load_dword v1, v[24:25], off
	v_lshl_add_u64 v[24:25], v[4:5], 2, s[6:7]
	v_add_u32_e32 v4, 0x100, v2
	global_load_dword v28, v[26:27], off
	global_load_dword v29, v[24:25], off
	;; [unrolled: 1-line block ×3, first 2 shown]
	v_lshl_add_u64 v[10:11], v[4:5], 2, s[6:7]
	v_add_u32_e32 v4, 0x180, v2
	v_add_u32_e32 v12, 0x100, v3
	v_mov_b32_e32 v13, v5
	v_add_u32_e32 v14, 0x180, v3
	v_mov_b32_e32 v15, v5
	v_lshl_add_u64 v[24:25], v[4:5], 2, s[6:7]
	v_add_u32_e32 v4, 0x200, v2
	v_lshl_add_u64 v[12:13], v[12:13], 2, s[6:7]
	v_lshl_add_u64 v[14:15], v[14:15], 2, s[6:7]
	global_load_dword v26, v[10:11], off
	global_load_dword v27, v[12:13], off
	;; [unrolled: 1-line block ×4, first 2 shown]
	v_lshl_add_u64 v[10:11], v[4:5], 2, s[6:7]
	v_add_u32_e32 v4, 0x280, v2
	v_add_u32_e32 v16, 0x200, v3
	v_mov_b32_e32 v17, v5
	v_add_u32_e32 v18, 0x280, v3
	v_mov_b32_e32 v19, v5
	v_lshl_add_u64 v[12:13], v[4:5], 2, s[6:7]
	v_add_u32_e32 v4, 0x300, v2
	v_add_u32_e32 v20, 0x300, v3
	v_mov_b32_e32 v21, v5
	v_add_u32_e32 v22, 0x380, v3
	v_mov_b32_e32 v23, v5
	v_lshl_add_u64 v[16:17], v[16:17], 2, s[6:7]
	v_lshl_add_u64 v[18:19], v[18:19], 2, s[6:7]
	global_load_dword v14, v[10:11], off
	global_load_dword v15, v[16:17], off
	;; [unrolled: 1-line block ×4, first 2 shown]
	v_lshl_add_u64 v[10:11], v[4:5], 2, s[6:7]
	v_add_u32_e32 v4, 0x380, v2
	v_lshl_add_u64 v[20:21], v[20:21], 2, s[6:7]
	v_lshl_add_u64 v[22:23], v[22:23], 2, s[6:7]
	;; [unrolled: 1-line block ×3, first 2 shown]
	global_load_dword v16, v[10:11], off
	global_load_dword v17, v[20:21], off
	global_load_dword v18, v[12:13], off
	global_load_dword v19, v[22:23], off
	v_add_u32_e32 v8, -8, v8
	s_add_i32 s21, s21, 16
	v_cmp_eq_u32_e32 vcc, 0, v8
	v_add_u32_e32 v3, 0x400, v3
	v_mov_b32_e32 v4, s21
	s_or_b64 s[16:17], vcc, s[16:17]
	v_add_u32_e32 v2, 0x400, v2
	s_waitcnt vmcnt(14)
	ds_write2st64_b32 v9, v1, v28 offset1:1
	s_waitcnt vmcnt(12)
	ds_write2st64_b32 v9, v29, v30 offset0:2 offset1:3
	s_waitcnt vmcnt(10)
	ds_write2st64_b32 v9, v26, v27 offset0:4 offset1:5
	;; [unrolled: 2-line block ×7, first 2 shown]
	v_add_u32_e32 v9, 0x1000, v9
	s_andn2_b64 exec, exec, s[16:17]
	s_cbranch_execnz .LBB4_4
; %bb.5:
	s_or_b64 exec, exec, s[16:17]
.LBB4_6:
	s_or_b64 exec, exec, s[12:13]
	v_and_b32_e32 v1, 7, v7
	v_cmp_ne_u32_e32 vcc, 0, v1
	s_and_saveexec_b64 s[12:13], vcc
	s_cbranch_execz .LBB4_9
; %bb.7:
	v_lshlrev_b32_e32 v5, 2, v0
	v_lshl_or_b32 v4, v4, 8, v5
	v_add_u32_e32 v7, 0, v4
	s_mov_b64 s[16:17], 0
	v_mov_b32_e32 v5, 0
.LBB4_8:                                ; =>This Inner Loop Header: Depth=1
	v_mov_b32_e32 v4, v2
	v_lshl_add_u64 v[8:9], v[4:5], 2, s[6:7]
	v_mov_b32_e32 v4, v3
	v_lshl_add_u64 v[10:11], v[4:5], 2, s[6:7]
	global_load_dword v4, v[8:9], off
	global_load_dword v12, v[10:11], off
	v_add_u32_e32 v1, -1, v1
	v_cmp_eq_u32_e32 vcc, 0, v1
	v_add_u32_e32 v2, 0x80, v2
	v_add_u32_e32 v3, 0x80, v3
	s_or_b64 s[16:17], vcc, s[16:17]
	s_waitcnt vmcnt(0)
	ds_write2st64_b32 v7, v4, v12 offset1:1
	v_add_u32_e32 v7, 0x200, v7
	s_andn2_b64 exec, exec, s[16:17]
	s_cbranch_execnz .LBB4_8
.LBB4_9:
	s_or_b64 exec, exec, s[12:13]
	v_add_u32_e32 v1, 1, v6
	v_and_b32_e32 v3, 0x7fffffe, v1
	v_cmp_ne_u32_e32 vcc, v1, v3
	v_lshl_or_b32 v2, v3, 6, v0
	s_orn2_b64 s[6:7], vcc, exec
.LBB4_10:
	s_or_b64 exec, exec, s[4:5]
	s_and_b64 exec, exec, s[6:7]
	s_cbranch_execz .LBB4_13
; %bb.11:
	s_lshl_b64 s[4:5], s[2:3], 3
	s_add_u32 s4, s10, s4
	v_mov_b32_e32 v3, 0
	s_addc_u32 s5, s11, s5
	v_lshl_add_u64 v[4:5], v[2:3], 2, s[4:5]
	v_lshl_add_u32 v1, v2, 2, 0
	s_mov_b64 s[4:5], 0
	s_mov_b64 s[6:7], 0x100
.LBB4_12:                               ; =>This Inner Loop Header: Depth=1
	global_load_dword v3, v[4:5], off
	v_add_u32_e32 v2, 64, v2
	v_cmp_le_i32_e32 vcc, s20, v2
	v_lshl_add_u64 v[4:5], v[4:5], 0, s[6:7]
	s_or_b64 s[4:5], vcc, s[4:5]
	s_waitcnt vmcnt(0)
	ds_write_b32 v1, v3
	v_add_u32_e32 v1, 0x100, v1
	s_andn2_b64 exec, exec, s[4:5]
	s_cbranch_execnz .LBB4_12
.LBB4_13:
	s_or_b64 exec, exec, s[0:1]
	v_mov_b32_e32 v1, 0
	s_waitcnt lgkmcnt(0)
	; wave barrier
	ds_read_b32 v1, v1
	s_cmp_lt_i32 s19, 2
	s_cbranch_scc1 .LBB4_21
; %bb.14:
	s_cmp_eq_u32 s19, 2
	s_cbranch_scc1 .LBB4_18
; %bb.15:
	s_add_i32 s3, s19, -1
	s_and_b32 s4, s3, -2
	s_add_i32 s6, 0, 8
	s_mov_b32 s5, 2
	s_waitcnt lgkmcnt(0)
	v_mov_b32_e32 v4, v1
.LBB4_16:                               ; =>This Inner Loop Header: Depth=1
	v_mov_b32_e32 v2, v1
	v_mov_b32_e32 v1, s6
	;; [unrolled: 1-line block ×3, first 2 shown]
	ds_read2_b32 v[4:5], v1 offset1:2
	s_cmp_lg_u32 s4, s5
	s_cselect_b64 s[10:11], -1, 0
	v_max_f32_e32 v1, v3, v3
	v_max_f32_e32 v6, v2, v2
	s_waitcnt lgkmcnt(0)
	v_cmp_u_f32_e32 vcc, v5, v5
	v_max_f32_e32 v7, v5, v5
	v_max_f32_e32 v8, v4, v4
	v_cndmask_b32_e64 v5, 0, 1, vcc
	v_cmp_u_f32_e32 vcc, v4, v4
	v_readfirstlane_b32 s0, v5
	s_lshl_b32 s0, s0, 1
	v_cndmask_b32_e64 v9, 0, 1, vcc
	v_max_f32_e32 v4, v1, v7
	v_readfirstlane_b32 s1, v9
	s_or_b32 s0, s1, s0
	s_and_b32 s7, s0, 3
	s_cmp_lg_u32 s7, 0
	s_cselect_b64 s[0:1], -1, 0
	s_cmp_eq_u32 s7, 0
	s_cselect_b64 s[12:13], -1, 0
	s_and_b64 s[10:11], s[12:13], s[10:11]
	v_max_f32_e32 v1, v6, v8
	s_add_i32 s5, s5, 2
	s_add_i32 s6, s6, 16
	s_and_b64 vcc, exec, s[10:11]
	s_cbranch_vccnz .LBB4_16
; %bb.17:
	s_add_i32 s5, s5, -4
	s_and_b64 s[6:7], s[0:1], exec
	s_cselect_b32 s5, s5, s3
	s_or_b32 s5, s5, 1
	v_cndmask_b32_e64 v1, v1, v2, s[0:1]
	v_cndmask_b32_e64 v2, v4, v3, s[0:1]
	s_cmp_lg_u32 s3, s4
	v_max_f32_e32 v2, v2, v2
	v_max_f32_e32 v1, v1, v1
	s_cselect_b64 s[6:7], -1, 0
	v_max_f32_e32 v1, v1, v2
	s_or_b64 s[0:1], s[6:7], s[0:1]
	s_and_b64 vcc, exec, s[0:1]
	s_cbranch_vccnz .LBB4_19
	s_branch .LBB4_21
.LBB4_18:
	s_mov_b32 s5, 1
	s_cbranch_execz .LBB4_21
.LBB4_19:
	s_lshl_b32 s1, s5, 3
	s_sub_i32 s0, s19, s5
	s_add_i32 s1, s1, 0
.LBB4_20:                               ; =>This Inner Loop Header: Depth=1
	v_mov_b32_e32 v2, s1
	ds_read_b32 v2, v2
	s_waitcnt lgkmcnt(1)
	v_max_f32_e32 v1, v1, v1
	s_add_i32 s0, s0, -1
	s_add_i32 s1, s1, 8
	s_cmp_eq_u32 s0, 0
	s_waitcnt lgkmcnt(0)
	v_max_f32_e32 v2, v2, v2
	v_max_f32_e32 v1, v1, v2
	s_cbranch_scc0 .LBB4_20
.LBB4_21:
	s_cmp_lt_i32 s19, 1
	s_cbranch_scc1 .LBB4_26
; %bb.22:
	s_lshl_b32 s0, s2, 6
	s_ashr_i32 s1, s0, 31
	s_lshl_b64 s[0:1], s[0:1], 2
	s_add_u32 s16, s8, s0
	s_addc_u32 s17, s9, s1
	s_cmp_lt_u32 s19, 8
	s_cbranch_scc1 .LBB4_27
; %bb.23:
	v_mov_b32_e32 v7, 0
	s_and_b32 s20, s19, 0x7ffffff8
	v_or_b32_e32 v4, 0x1c0, v0
	s_mov_b32 s21, 0
	s_mov_b32 s22, 0x3fb8aa3b
	;; [unrolled: 1-line block ×4, first 2 shown]
	v_mov_b32_e32 v8, 0x7f800000
	s_mov_b32 s25, 0
	v_mov_b32_e32 v2, v7
	v_mov_b32_e32 v3, v7
.LBB4_24:                               ; =>This Inner Loop Header: Depth=1
	v_add_u32_e32 v6, 0xfffffe40, v4
	v_lshl_add_u64 v[26:27], v[6:7], 2, s[16:17]
	v_add_u32_e32 v6, 0xfffffe80, v4
	v_mov_b32_e32 v9, s21
	v_lshl_add_u64 v[30:31], v[6:7], 2, s[16:17]
	v_add_u32_e32 v6, 0xfffffec0, v4
	ds_read2_b64 v[10:13], v9 offset1:1
	ds_read2_b64 v[14:17], v9 offset0:2 offset1:3
	ds_read2_b64 v[18:21], v9 offset0:4 offset1:5
	;; [unrolled: 1-line block ×3, first 2 shown]
	global_load_dword v33, v[26:27], off
	global_load_dword v35, v[30:31], off
	v_lshl_add_u64 v[26:27], v[6:7], 2, s[16:17]
	v_add_u32_e32 v6, 0xffffff00, v4
	v_lshl_add_u64 v[30:31], v[6:7], 2, s[16:17]
	v_add_u32_e32 v6, 0xffffff40, v4
	global_load_dword v37, v[26:27], off
	global_load_dword v39, v[30:31], off
	v_lshl_add_u64 v[26:27], v[6:7], 2, s[16:17]
	v_add_u32_e32 v6, 0xffffff80, v4
	s_waitcnt lgkmcnt(3)
	v_mov_b32_e32 v32, v11
	v_sub_f32_e32 v9, v12, v1
	v_mov_b32_e32 v34, v13
	global_load_dword v11, v[26:27], off
	v_lshl_add_u64 v[12:13], v[6:7], 2, s[16:17]
	s_waitcnt lgkmcnt(2)
	v_mov_b32_e32 v36, v15
	v_subrev_u32_e32 v6, 64, v4
	global_load_dword v15, v[12:13], off
	v_mov_b32_e32 v5, v7
	v_lshl_add_u64 v[12:13], v[6:7], 2, s[16:17]
	v_lshl_add_u64 v[28:29], v[4:5], 2, s[16:17]
	v_sub_f32_e32 v5, v10, v1
	v_mov_b32_e32 v38, v17
	s_waitcnt lgkmcnt(1)
	v_mov_b32_e32 v10, v19
	global_load_dword v17, v[12:13], off
	global_load_dword v19, v[28:29], off
	v_sub_f32_e32 v30, v14, v1
	v_sub_f32_e32 v31, v16, v1
	;; [unrolled: 1-line block ×3, first 2 shown]
	v_mov_b32_e32 v14, v21
	s_waitcnt lgkmcnt(0)
	v_sub_f32_e32 v21, v22, v1
	v_mov_b32_e32 v16, v23
	v_sub_f32_e32 v22, v24, v1
	v_mul_f32_e32 v23, 0x3fb8aa3b, v5
	v_mov_b32_e32 v18, v25
	v_mul_f32_e32 v24, 0x3fb8aa3b, v9
	v_mul_f32_e32 v25, 0x3fb8aa3b, v30
	;; [unrolled: 1-line block ×5, first 2 shown]
	v_fma_f32 v43, v5, s22, -v23
	v_rndne_f32_e32 v44, v23
	v_sub_f32_e32 v20, v20, v1
	v_fma_f32 v45, v9, s22, -v24
	v_rndne_f32_e32 v46, v24
	v_fma_f32 v47, v30, s22, -v25
	v_rndne_f32_e32 v48, v25
	;; [unrolled: 2-line block ×5, first 2 shown]
	v_fmac_f32_e32 v43, 0x32a5705f, v5
	v_sub_f32_e32 v12, v23, v44
	v_mul_f32_e32 v26, 0x3fb8aa3b, v31
	v_mul_f32_e32 v41, 0x3fb8aa3b, v20
	v_fmac_f32_e32 v45, 0x32a5705f, v9
	v_sub_f32_e32 v23, v24, v46
	v_fmac_f32_e32 v47, 0x32a5705f, v30
	v_sub_f32_e32 v25, v25, v48
	;; [unrolled: 2-line block ×5, first 2 shown]
	v_add_f32_e32 v12, v12, v43
	v_fma_f32 v49, v31, s22, -v26
	v_rndne_f32_e32 v50, v26
	v_fma_f32 v53, v20, s22, -v41
	v_rndne_f32_e32 v54, v41
	v_cvt_i32_f32_e32 v13, v44
	v_add_f32_e32 v23, v23, v45
	v_add_f32_e32 v25, v25, v47
	;; [unrolled: 1-line block ×5, first 2 shown]
	v_exp_f32_e32 v12, v12
	v_cvt_i32_f32_e32 v24, v46
	v_cvt_i32_f32_e32 v28, v48
	v_fmac_f32_e32 v49, 0x32a5705f, v31
	v_sub_f32_e32 v26, v26, v50
	v_cvt_i32_f32_e32 v29, v50
	v_cvt_i32_f32_e32 v44, v52
	v_fmac_f32_e32 v53, 0x32a5705f, v20
	v_sub_f32_e32 v41, v41, v54
	v_cvt_i32_f32_e32 v48, v56
	v_cvt_i32_f32_e32 v50, v58
	v_exp_f32_e32 v23, v23
	v_exp_f32_e32 v25, v25
	;; [unrolled: 1-line block ×5, first 2 shown]
	v_add_f32_e32 v26, v26, v49
	v_add_f32_e32 v41, v41, v53
	v_cvt_i32_f32_e32 v46, v54
	v_exp_f32_e32 v26, v26
	v_exp_f32_e32 v41, v41
	v_ldexp_f32 v12, v12, v13
	v_cmp_ngt_f32_e64 s[12:13], s23, v5
	v_ldexp_f32 v13, v23, v24
	v_cmp_ngt_f32_e32 vcc, s23, v9
	v_ldexp_f32 v23, v25, v28
	v_ldexp_f32 v25, v27, v44
	;; [unrolled: 1-line block ×3, first 2 shown]
	v_cmp_ngt_f32_e64 s[8:9], s23, v21
	v_ldexp_f32 v6, v6, v50
	v_cmp_ngt_f32_e64 s[10:11], s23, v22
	v_cndmask_b32_e64 v12, 0, v12, s[12:13]
	v_cmp_nlt_f32_e64 s[12:13], s24, v5
	v_cmp_ngt_f32_e64 s[0:1], s23, v30
	v_cndmask_b32_e32 v13, 0, v13, vcc
	v_cmp_nlt_f32_e32 vcc, s24, v9
	v_cndmask_b32_e64 v27, 0, v27, s[8:9]
	v_cmp_nlt_f32_e64 s[8:9], s24, v21
	v_cndmask_b32_e64 v21, 0, v6, s[10:11]
	v_cndmask_b32_e64 v6, v8, v12, s[12:13]
	v_ldexp_f32 v24, v26, v29
	v_cmp_ngt_f32_e64 s[2:3], s23, v31
	v_cmp_ngt_f32_e64 s[4:5], s23, v40
	v_ldexp_f32 v26, v41, v46
	v_cmp_ngt_f32_e64 s[6:7], s23, v20
	v_cndmask_b32_e64 v9, 0, v23, s[0:1]
	v_cmp_nlt_f32_e64 s[0:1], s24, v30
	v_cndmask_b32_e32 v12, v8, v13, vcc
	s_waitcnt vmcnt(7)
	v_pk_fma_f32 v[2:3], v[6:7], v[32:33], v[2:3] op_sel_hi:[0,1,1]
	v_cndmask_b32_e64 v23, 0, v24, s[2:3]
	v_cmp_nlt_f32_e64 s[2:3], s24, v31
	v_cndmask_b32_e64 v24, 0, v25, s[4:5]
	v_cndmask_b32_e64 v25, 0, v26, s[6:7]
	v_cmp_nlt_f32_e64 s[6:7], s24, v20
	v_cndmask_b32_e64 v20, v8, v9, s[0:1]
	s_waitcnt vmcnt(6)
	v_pk_fma_f32 v[2:3], v[12:13], v[34:35], v[2:3] op_sel_hi:[0,1,1]
	v_cmp_nlt_f32_e64 s[4:5], s24, v40
	v_cmp_nlt_f32_e64 s[10:11], s24, v22
	v_cndmask_b32_e64 v22, v8, v23, s[2:3]
	s_waitcnt vmcnt(5)
	v_pk_fma_f32 v[2:3], v[20:21], v[36:37], v[2:3] op_sel_hi:[0,1,1]
	v_cndmask_b32_e64 v24, v8, v24, s[4:5]
	s_waitcnt vmcnt(4)
	v_pk_fma_f32 v[2:3], v[22:23], v[38:39], v[2:3] op_sel_hi:[0,1,1]
	;; [unrolled: 3-line block ×4, first 2 shown]
	s_add_i32 s25, s25, 8
	s_add_i32 s21, s21, 64
	v_cndmask_b32_e64 v30, v8, v21, s[10:11]
	s_waitcnt vmcnt(1)
	v_pk_fma_f32 v[2:3], v[28:29], v[16:17], v[2:3] op_sel_hi:[0,1,1]
	s_cmp_eq_u32 s20, s25
	v_add_u32_e32 v4, 0x200, v4
	s_waitcnt vmcnt(0)
	v_pk_fma_f32 v[2:3], v[30:31], v[18:19], v[2:3] op_sel_hi:[0,1,1]
	s_cbranch_scc0 .LBB4_24
; %bb.25:
	s_and_b32 s0, s19, 7
	s_cmp_eq_u32 s0, 0
	s_cbranch_scc0 .LBB4_28
	s_branch .LBB4_30
.LBB4_26:
	s_waitcnt lgkmcnt(0)
	v_mov_b32_e32 v1, 0x7fc00000
	s_branch .LBB4_31
.LBB4_27:
	v_mov_b32_e32 v2, 0
	s_mov_b32 s20, 0
	v_mov_b32_e32 v3, v2
	s_and_b32 s0, s19, 7
	s_cmp_eq_u32 s0, 0
	s_cbranch_scc1 .LBB4_30
.LBB4_28:
	s_lshl_b32 s1, s20, 3
	v_lshl_or_b32 v4, s20, 6, v0
	s_add_i32 s1, s1, 0
	s_mov_b32 s2, 0x3fb8aa3b
	s_mov_b32 s3, 0xc2ce8ed0
	;; [unrolled: 1-line block ×3, first 2 shown]
	v_mov_b32_e32 v6, 0x7f800000
	v_mov_b32_e32 v5, 0
.LBB4_29:                               ; =>This Inner Loop Header: Depth=1
	v_lshl_add_u64 v[8:9], v[4:5], 2, s[16:17]
	global_load_dword v9, v[8:9], off
	v_mov_b32_e32 v7, s1
	ds_read_b64 v[10:11], v7
	s_add_i32 s1, s1, 8
	s_add_i32 s0, s0, -1
	v_add_u32_e32 v4, 64, v4
	s_cmp_lg_u32 s0, 0
	s_waitcnt lgkmcnt(0)
	v_sub_f32_e32 v7, v10, v1
	v_mul_f32_e32 v8, 0x3fb8aa3b, v7
	v_fma_f32 v10, v7, s2, -v8
	v_rndne_f32_e32 v12, v8
	v_fmac_f32_e32 v10, 0x32a5705f, v7
	v_sub_f32_e32 v8, v8, v12
	v_add_f32_e32 v8, v8, v10
	v_cvt_i32_f32_e32 v12, v12
	v_exp_f32_e32 v10, v8
	v_cmp_ngt_f32_e32 vcc, s3, v7
	v_mov_b32_e32 v8, v11
	v_ldexp_f32 v10, v10, v12
	v_cndmask_b32_e32 v10, 0, v10, vcc
	v_cmp_nlt_f32_e32 vcc, s4, v7
	s_nop 1
	v_cndmask_b32_e32 v10, v6, v10, vcc
	s_waitcnt vmcnt(0)
	v_pk_fma_f32 v[2:3], v[10:11], v[8:9], v[2:3] op_sel_hi:[0,1,1]
	s_cbranch_scc1 .LBB4_29
.LBB4_30:
	s_waitcnt lgkmcnt(0)
	v_div_scale_f32 v1, s[0:1], v2, v2, v3
	v_rcp_f32_e32 v4, v1
	v_div_scale_f32 v5, vcc, v3, v2, v3
	v_fma_f32 v6, -v1, v4, 1.0
	v_fmac_f32_e32 v4, v6, v4
	v_mul_f32_e32 v6, v5, v4
	v_fma_f32 v7, -v1, v6, v5
	v_fmac_f32_e32 v6, v7, v4
	v_fma_f32 v1, -v1, v6, v5
	v_div_fmas_f32 v1, v1, v4, v6
	v_div_fixup_f32 v1, v1, v2, v3
.LBB4_31:
	s_lshl_b32 s0, s18, 6
	s_ashr_i32 s1, s0, 31
	s_lshl_b64 s[0:1], s[0:1], 2
	s_add_u32 s0, s14, s0
	s_addc_u32 s1, s15, s1
	v_lshlrev_b32_e32 v0, 2, v0
	global_store_dword v0, v1, s[0:1]
	s_endpgm
	.section	.rodata,"a",@progbits
	.p2align	6, 0x0
	.amdhsa_kernel _ZL26flash_attn_combine_resultsILi64EEvPKfPK15HIP_vector_typeIfLj2EEPfi
		.amdhsa_group_segment_fixed_size 0
		.amdhsa_private_segment_fixed_size 0
		.amdhsa_kernarg_size 288
		.amdhsa_user_sgpr_count 2
		.amdhsa_user_sgpr_dispatch_ptr 0
		.amdhsa_user_sgpr_queue_ptr 0
		.amdhsa_user_sgpr_kernarg_segment_ptr 1
		.amdhsa_user_sgpr_dispatch_id 0
		.amdhsa_user_sgpr_kernarg_preload_length 0
		.amdhsa_user_sgpr_kernarg_preload_offset 0
		.amdhsa_user_sgpr_private_segment_size 0
		.amdhsa_uses_dynamic_stack 0
		.amdhsa_enable_private_segment 0
		.amdhsa_system_sgpr_workgroup_id_x 1
		.amdhsa_system_sgpr_workgroup_id_y 1
		.amdhsa_system_sgpr_workgroup_id_z 1
		.amdhsa_system_sgpr_workgroup_info 0
		.amdhsa_system_vgpr_workitem_id 0
		.amdhsa_next_free_vgpr 59
		.amdhsa_next_free_sgpr 26
		.amdhsa_accum_offset 60
		.amdhsa_reserve_vcc 1
		.amdhsa_float_round_mode_32 0
		.amdhsa_float_round_mode_16_64 0
		.amdhsa_float_denorm_mode_32 3
		.amdhsa_float_denorm_mode_16_64 3
		.amdhsa_dx10_clamp 1
		.amdhsa_ieee_mode 1
		.amdhsa_fp16_overflow 0
		.amdhsa_tg_split 0
		.amdhsa_exception_fp_ieee_invalid_op 0
		.amdhsa_exception_fp_denorm_src 0
		.amdhsa_exception_fp_ieee_div_zero 0
		.amdhsa_exception_fp_ieee_overflow 0
		.amdhsa_exception_fp_ieee_underflow 0
		.amdhsa_exception_fp_ieee_inexact 0
		.amdhsa_exception_int_div_zero 0
	.end_amdhsa_kernel
	.section	.text._ZL26flash_attn_combine_resultsILi64EEvPKfPK15HIP_vector_typeIfLj2EEPfi,"axG",@progbits,_ZL26flash_attn_combine_resultsILi64EEvPKfPK15HIP_vector_typeIfLj2EEPfi,comdat
.Lfunc_end4:
	.size	_ZL26flash_attn_combine_resultsILi64EEvPKfPK15HIP_vector_typeIfLj2EEPfi, .Lfunc_end4-_ZL26flash_attn_combine_resultsILi64EEvPKfPK15HIP_vector_typeIfLj2EEPfi
                                        ; -- End function
	.set _ZL26flash_attn_combine_resultsILi64EEvPKfPK15HIP_vector_typeIfLj2EEPfi.num_vgpr, 59
	.set _ZL26flash_attn_combine_resultsILi64EEvPKfPK15HIP_vector_typeIfLj2EEPfi.num_agpr, 0
	.set _ZL26flash_attn_combine_resultsILi64EEvPKfPK15HIP_vector_typeIfLj2EEPfi.numbered_sgpr, 26
	.set _ZL26flash_attn_combine_resultsILi64EEvPKfPK15HIP_vector_typeIfLj2EEPfi.num_named_barrier, 0
	.set _ZL26flash_attn_combine_resultsILi64EEvPKfPK15HIP_vector_typeIfLj2EEPfi.private_seg_size, 0
	.set _ZL26flash_attn_combine_resultsILi64EEvPKfPK15HIP_vector_typeIfLj2EEPfi.uses_vcc, 1
	.set _ZL26flash_attn_combine_resultsILi64EEvPKfPK15HIP_vector_typeIfLj2EEPfi.uses_flat_scratch, 0
	.set _ZL26flash_attn_combine_resultsILi64EEvPKfPK15HIP_vector_typeIfLj2EEPfi.has_dyn_sized_stack, 0
	.set _ZL26flash_attn_combine_resultsILi64EEvPKfPK15HIP_vector_typeIfLj2EEPfi.has_recursion, 0
	.set _ZL26flash_attn_combine_resultsILi64EEvPKfPK15HIP_vector_typeIfLj2EEPfi.has_indirect_call, 0
	.section	.AMDGPU.csdata,"",@progbits
; Kernel info:
; codeLenInByte = 2900
; TotalNumSgprs: 32
; NumVgprs: 59
; NumAgprs: 0
; TotalNumVgprs: 59
; ScratchSize: 0
; MemoryBound: 0
; FloatMode: 240
; IeeeMode: 1
; LDSByteSize: 0 bytes/workgroup (compile time only)
; SGPRBlocks: 3
; VGPRBlocks: 7
; NumSGPRsForWavesPerEU: 32
; NumVGPRsForWavesPerEU: 59
; AccumOffset: 60
; Occupancy: 8
; WaveLimiterHint : 0
; COMPUTE_PGM_RSRC2:SCRATCH_EN: 0
; COMPUTE_PGM_RSRC2:USER_SGPR: 2
; COMPUTE_PGM_RSRC2:TRAP_HANDLER: 0
; COMPUTE_PGM_RSRC2:TGID_X_EN: 1
; COMPUTE_PGM_RSRC2:TGID_Y_EN: 1
; COMPUTE_PGM_RSRC2:TGID_Z_EN: 1
; COMPUTE_PGM_RSRC2:TIDIG_COMP_CNT: 0
; COMPUTE_PGM_RSRC3_GFX90A:ACCUM_OFFSET: 14
; COMPUTE_PGM_RSRC3_GFX90A:TG_SPLIT: 0
	.text
	.p2align	2                               ; -- Begin function __ockl_printf_append_string_n
	.type	__ockl_printf_append_string_n,@function
__ockl_printf_append_string_n:          ; @__ockl_printf_append_string_n
; %bb.0:
	s_waitcnt vmcnt(0) expcnt(0) lgkmcnt(0)
	s_getpc_b64 s[0:1]
	s_add_u32 s0, s0, __FUNCTION__._ZL18flash_attn_ext_vecILi64ELi1EL9ggml_type3ELS0_30ELb1EEvPKcS2_S2_S2_S2_PKiPfP15HIP_vector_typeIfLj2EEffffjfiS6_IjLj3EEiiiiiiiiiiiliiliiiiil@rel32@lo+4
	s_addc_u32 s1, s1, __FUNCTION__._ZL18flash_attn_ext_vecILi64ELi1EL9ggml_type3ELS0_30ELb1EEvPKcS2_S2_S2_S2_PKiPfP15HIP_vector_typeIfLj2EEffffjfiS6_IjLj3EEiiiiiiiiiiiliiliiiiil@rel32@hi+12
	v_mov_b32_e32 v2, v0
	s_mov_b64 s[2:3], 0
	s_cmp_lg_u64 s[0:1], 0
	v_mbcnt_lo_u32_b32 v3, -1, 0
	s_cbranch_scc0 .LBB5_87
; %bb.1:
	s_load_dwordx2 s[4:5], s[8:9], 0x50
	v_and_b32_e32 v0, -3, v2
	s_getpc_b64 s[0:1]
	s_add_u32 s0, s0, __FUNCTION__._ZL18flash_attn_ext_vecILi64ELi1EL9ggml_type3ELS0_30ELb1EEvPKcS2_S2_S2_S2_PKiPfP15HIP_vector_typeIfLj2EEffffjfiS6_IjLj3EEiiiiiiiiiiiliiliiiiil@rel32@lo+4
	s_addc_u32 s1, s1, __FUNCTION__._ZL18flash_attn_ext_vecILi64ELi1EL9ggml_type3ELS0_30ELb1EEvPKcS2_S2_S2_S2_PKiPfP15HIP_vector_typeIfLj2EEffffjfiS6_IjLj3EEiiiiiiiiiiiliiliiiiil@rel32@hi+12
	v_and_b32_e32 v26, 2, v2
	s_mov_b32 s16, 0
	v_mov_b32_e32 v29, 0
	v_mbcnt_hi_u32_b32 v30, -1, v3
	v_mov_b64_e32 v[32:33], s[0:1]
	s_movk_i32 s17, 0x1e0
	v_mov_b32_e32 v50, 2
	v_mov_b32_e32 v51, 1
	v_mov_b64_e32 v[6:7], v[0:1]
	s_branch .LBB5_3
.LBB5_2:                                ;   in Loop: Header=BB5_3 Depth=1
	s_or_b64 exec, exec, s[10:11]
	v_sub_co_u32_e32 v4, vcc, v4, v34
	v_lshl_add_u64 v[32:33], v[32:33], 0, v[34:35]
	s_nop 0
	v_subb_co_u32_e32 v5, vcc, v5, v35, vcc
	v_cmp_eq_u64_e32 vcc, 0, v[4:5]
	s_or_b64 s[2:3], vcc, s[2:3]
	s_andn2_b64 exec, exec, s[2:3]
	s_cbranch_execz .LBB5_85
.LBB5_3:                                ; =>This Loop Header: Depth=1
                                        ;     Child Loop BB5_6 Depth 2
                                        ;     Child Loop BB5_14 Depth 2
	;; [unrolled: 1-line block ×11, first 2 shown]
	v_cmp_gt_u64_e32 vcc, 56, v[4:5]
	v_lshl_add_u64 v[12:13], v[32:33], 0, 8
	s_nop 0
	v_cndmask_b32_e32 v35, 0, v5, vcc
	v_cndmask_b32_e32 v34, 56, v4, vcc
	v_cmp_gt_u64_e32 vcc, 8, v[4:5]
	s_and_saveexec_b64 s[0:1], vcc
	s_xor_b64 s[0:1], exec, s[0:1]
	s_cbranch_execz .LBB5_9
; %bb.4:                                ;   in Loop: Header=BB5_3 Depth=1
	v_mov_b64_e32 v[8:9], 0
	v_cmp_ne_u64_e32 vcc, 0, v[4:5]
	s_and_saveexec_b64 s[6:7], vcc
	s_cbranch_execz .LBB5_8
; %bb.5:                                ;   in Loop: Header=BB5_3 Depth=1
	v_lshlrev_b64 v[10:11], 3, v[34:35]
	s_mov_b64 s[10:11], 0
	v_mov_b64_e32 v[8:9], 0
	v_mov_b64_e32 v[12:13], v[32:33]
	s_mov_b64 s[12:13], 0
.LBB5_6:                                ;   Parent Loop BB5_3 Depth=1
                                        ; =>  This Inner Loop Header: Depth=2
	global_load_ubyte v0, v[12:13], off
	v_mov_b32_e32 v15, s16
	v_lshl_add_u64 v[12:13], v[12:13], 0, 1
	s_waitcnt vmcnt(0)
	v_and_b32_e32 v14, 0xffff, v0
	v_lshlrev_b64 v[14:15], s12, v[14:15]
	s_add_u32 s12, s12, 8
	s_addc_u32 s13, s13, 0
	v_cmp_eq_u32_e32 vcc, s12, v10
	v_or_b32_e32 v9, v15, v9
	s_or_b64 s[10:11], vcc, s[10:11]
	v_or_b32_e32 v8, v14, v8
	s_andn2_b64 exec, exec, s[10:11]
	s_cbranch_execnz .LBB5_6
; %bb.7:                                ;   in Loop: Header=BB5_3 Depth=1
	s_or_b64 exec, exec, s[10:11]
.LBB5_8:                                ;   in Loop: Header=BB5_3 Depth=1
	s_or_b64 exec, exec, s[6:7]
	v_mov_b64_e32 v[12:13], v[32:33]
.LBB5_9:                                ;   in Loop: Header=BB5_3 Depth=1
	s_or_saveexec_b64 s[0:1], s[0:1]
	v_mov_b32_e32 v0, 0
	s_xor_b64 exec, exec, s[0:1]
	s_cbranch_execz .LBB5_11
; %bb.10:                               ;   in Loop: Header=BB5_3 Depth=1
	global_load_dwordx2 v[8:9], v[32:33], off
	v_add_u32_e32 v0, -8, v34
.LBB5_11:                               ;   in Loop: Header=BB5_3 Depth=1
	s_or_b64 exec, exec, s[0:1]
	v_cmp_gt_u32_e32 vcc, 8, v0
	v_lshl_add_u64 v[14:15], v[12:13], 0, 8
                                        ; implicit-def: $vgpr10_vgpr11
	s_and_saveexec_b64 s[0:1], vcc
	s_xor_b64 s[0:1], exec, s[0:1]
	s_cbranch_execz .LBB5_17
; %bb.12:                               ;   in Loop: Header=BB5_3 Depth=1
	v_cmp_ne_u32_e32 vcc, 0, v0
	v_mov_b64_e32 v[10:11], 0
	s_and_saveexec_b64 s[6:7], vcc
	s_cbranch_execz .LBB5_16
; %bb.13:                               ;   in Loop: Header=BB5_3 Depth=1
	s_mov_b64 s[10:11], 0
	v_mov_b64_e32 v[10:11], 0
	s_mov_b64 s[12:13], 0
	s_mov_b64 s[14:15], 0
.LBB5_14:                               ;   Parent Loop BB5_3 Depth=1
                                        ; =>  This Inner Loop Header: Depth=2
	v_lshl_add_u64 v[14:15], v[12:13], 0, s[14:15]
	global_load_ubyte v14, v[14:15], off
	s_add_u32 s14, s14, 1
	v_mov_b32_e32 v15, s16
	s_addc_u32 s15, s15, 0
	v_cmp_eq_u32_e32 vcc, s14, v0
	s_waitcnt vmcnt(0)
	v_and_b32_e32 v14, 0xffff, v14
	v_lshlrev_b64 v[14:15], s12, v[14:15]
	s_add_u32 s12, s12, 8
	s_addc_u32 s13, s13, 0
	v_or_b32_e32 v11, v15, v11
	s_or_b64 s[10:11], vcc, s[10:11]
	v_or_b32_e32 v10, v14, v10
	s_andn2_b64 exec, exec, s[10:11]
	s_cbranch_execnz .LBB5_14
; %bb.15:                               ;   in Loop: Header=BB5_3 Depth=1
	s_or_b64 exec, exec, s[10:11]
.LBB5_16:                               ;   in Loop: Header=BB5_3 Depth=1
	s_or_b64 exec, exec, s[6:7]
	v_mov_b64_e32 v[14:15], v[12:13]
                                        ; implicit-def: $vgpr0
.LBB5_17:                               ;   in Loop: Header=BB5_3 Depth=1
	s_or_saveexec_b64 s[0:1], s[0:1]
	v_mov_b32_e32 v18, 0
	s_xor_b64 exec, exec, s[0:1]
	s_cbranch_execz .LBB5_19
; %bb.18:                               ;   in Loop: Header=BB5_3 Depth=1
	global_load_dwordx2 v[10:11], v[12:13], off
	v_add_u32_e32 v18, -8, v0
.LBB5_19:                               ;   in Loop: Header=BB5_3 Depth=1
	s_or_b64 exec, exec, s[0:1]
	v_cmp_gt_u32_e32 vcc, 8, v18
	v_lshl_add_u64 v[16:17], v[14:15], 0, 8
	s_and_saveexec_b64 s[0:1], vcc
	s_xor_b64 s[0:1], exec, s[0:1]
	s_cbranch_execz .LBB5_25
; %bb.20:                               ;   in Loop: Header=BB5_3 Depth=1
	v_cmp_ne_u32_e32 vcc, 0, v18
	v_mov_b64_e32 v[12:13], 0
	s_and_saveexec_b64 s[6:7], vcc
	s_cbranch_execz .LBB5_24
; %bb.21:                               ;   in Loop: Header=BB5_3 Depth=1
	s_mov_b64 s[10:11], 0
	v_mov_b64_e32 v[12:13], 0
	s_mov_b64 s[12:13], 0
	s_mov_b64 s[14:15], 0
.LBB5_22:                               ;   Parent Loop BB5_3 Depth=1
                                        ; =>  This Inner Loop Header: Depth=2
	v_lshl_add_u64 v[16:17], v[14:15], 0, s[14:15]
	global_load_ubyte v0, v[16:17], off
	s_add_u32 s14, s14, 1
	v_mov_b32_e32 v17, s16
	s_addc_u32 s15, s15, 0
	v_cmp_eq_u32_e32 vcc, s14, v18
	s_waitcnt vmcnt(0)
	v_and_b32_e32 v16, 0xffff, v0
	v_lshlrev_b64 v[16:17], s12, v[16:17]
	s_add_u32 s12, s12, 8
	s_addc_u32 s13, s13, 0
	v_or_b32_e32 v13, v17, v13
	s_or_b64 s[10:11], vcc, s[10:11]
	v_or_b32_e32 v12, v16, v12
	s_andn2_b64 exec, exec, s[10:11]
	s_cbranch_execnz .LBB5_22
; %bb.23:                               ;   in Loop: Header=BB5_3 Depth=1
	s_or_b64 exec, exec, s[10:11]
.LBB5_24:                               ;   in Loop: Header=BB5_3 Depth=1
	s_or_b64 exec, exec, s[6:7]
	v_mov_b64_e32 v[16:17], v[14:15]
                                        ; implicit-def: $vgpr18
.LBB5_25:                               ;   in Loop: Header=BB5_3 Depth=1
	s_or_saveexec_b64 s[0:1], s[0:1]
	v_mov_b32_e32 v0, 0
	s_xor_b64 exec, exec, s[0:1]
	s_cbranch_execz .LBB5_27
; %bb.26:                               ;   in Loop: Header=BB5_3 Depth=1
	global_load_dwordx2 v[12:13], v[14:15], off
	v_add_u32_e32 v0, -8, v18
.LBB5_27:                               ;   in Loop: Header=BB5_3 Depth=1
	s_or_b64 exec, exec, s[0:1]
	v_cmp_gt_u32_e32 vcc, 8, v0
	v_lshl_add_u64 v[18:19], v[16:17], 0, 8
                                        ; implicit-def: $vgpr14_vgpr15
	s_and_saveexec_b64 s[0:1], vcc
	s_xor_b64 s[0:1], exec, s[0:1]
	s_cbranch_execz .LBB5_33
; %bb.28:                               ;   in Loop: Header=BB5_3 Depth=1
	v_cmp_ne_u32_e32 vcc, 0, v0
	v_mov_b64_e32 v[14:15], 0
	s_and_saveexec_b64 s[6:7], vcc
	s_cbranch_execz .LBB5_32
; %bb.29:                               ;   in Loop: Header=BB5_3 Depth=1
	s_mov_b64 s[10:11], 0
	v_mov_b64_e32 v[14:15], 0
	s_mov_b64 s[12:13], 0
	s_mov_b64 s[14:15], 0
.LBB5_30:                               ;   Parent Loop BB5_3 Depth=1
                                        ; =>  This Inner Loop Header: Depth=2
	v_lshl_add_u64 v[18:19], v[16:17], 0, s[14:15]
	global_load_ubyte v18, v[18:19], off
	s_add_u32 s14, s14, 1
	v_mov_b32_e32 v19, s16
	s_addc_u32 s15, s15, 0
	v_cmp_eq_u32_e32 vcc, s14, v0
	s_waitcnt vmcnt(0)
	v_and_b32_e32 v18, 0xffff, v18
	v_lshlrev_b64 v[18:19], s12, v[18:19]
	s_add_u32 s12, s12, 8
	s_addc_u32 s13, s13, 0
	v_or_b32_e32 v15, v19, v15
	s_or_b64 s[10:11], vcc, s[10:11]
	v_or_b32_e32 v14, v18, v14
	s_andn2_b64 exec, exec, s[10:11]
	s_cbranch_execnz .LBB5_30
; %bb.31:                               ;   in Loop: Header=BB5_3 Depth=1
	s_or_b64 exec, exec, s[10:11]
.LBB5_32:                               ;   in Loop: Header=BB5_3 Depth=1
	s_or_b64 exec, exec, s[6:7]
	v_mov_b64_e32 v[18:19], v[16:17]
                                        ; implicit-def: $vgpr0
.LBB5_33:                               ;   in Loop: Header=BB5_3 Depth=1
	s_or_saveexec_b64 s[0:1], s[0:1]
	v_mov_b32_e32 v22, 0
	s_xor_b64 exec, exec, s[0:1]
	s_cbranch_execz .LBB5_35
; %bb.34:                               ;   in Loop: Header=BB5_3 Depth=1
	global_load_dwordx2 v[14:15], v[16:17], off
	v_add_u32_e32 v22, -8, v0
.LBB5_35:                               ;   in Loop: Header=BB5_3 Depth=1
	s_or_b64 exec, exec, s[0:1]
	v_cmp_gt_u32_e32 vcc, 8, v22
	v_lshl_add_u64 v[20:21], v[18:19], 0, 8
	s_and_saveexec_b64 s[0:1], vcc
	s_xor_b64 s[0:1], exec, s[0:1]
	s_cbranch_execz .LBB5_41
; %bb.36:                               ;   in Loop: Header=BB5_3 Depth=1
	v_cmp_ne_u32_e32 vcc, 0, v22
	v_mov_b64_e32 v[16:17], 0
	s_and_saveexec_b64 s[6:7], vcc
	s_cbranch_execz .LBB5_40
; %bb.37:                               ;   in Loop: Header=BB5_3 Depth=1
	s_mov_b64 s[10:11], 0
	v_mov_b64_e32 v[16:17], 0
	s_mov_b64 s[12:13], 0
	s_mov_b64 s[14:15], 0
.LBB5_38:                               ;   Parent Loop BB5_3 Depth=1
                                        ; =>  This Inner Loop Header: Depth=2
	v_lshl_add_u64 v[20:21], v[18:19], 0, s[14:15]
	global_load_ubyte v0, v[20:21], off
	s_add_u32 s14, s14, 1
	v_mov_b32_e32 v21, s16
	s_addc_u32 s15, s15, 0
	v_cmp_eq_u32_e32 vcc, s14, v22
	s_waitcnt vmcnt(0)
	v_and_b32_e32 v20, 0xffff, v0
	v_lshlrev_b64 v[20:21], s12, v[20:21]
	s_add_u32 s12, s12, 8
	s_addc_u32 s13, s13, 0
	v_or_b32_e32 v17, v21, v17
	s_or_b64 s[10:11], vcc, s[10:11]
	v_or_b32_e32 v16, v20, v16
	s_andn2_b64 exec, exec, s[10:11]
	s_cbranch_execnz .LBB5_38
; %bb.39:                               ;   in Loop: Header=BB5_3 Depth=1
	s_or_b64 exec, exec, s[10:11]
.LBB5_40:                               ;   in Loop: Header=BB5_3 Depth=1
	s_or_b64 exec, exec, s[6:7]
	v_mov_b64_e32 v[20:21], v[18:19]
                                        ; implicit-def: $vgpr22
.LBB5_41:                               ;   in Loop: Header=BB5_3 Depth=1
	s_or_saveexec_b64 s[0:1], s[0:1]
	v_mov_b32_e32 v0, 0
	s_xor_b64 exec, exec, s[0:1]
	s_cbranch_execz .LBB5_43
; %bb.42:                               ;   in Loop: Header=BB5_3 Depth=1
	global_load_dwordx2 v[16:17], v[18:19], off
	v_add_u32_e32 v0, -8, v22
.LBB5_43:                               ;   in Loop: Header=BB5_3 Depth=1
	s_or_b64 exec, exec, s[0:1]
	v_cmp_gt_u32_e32 vcc, 8, v0
	v_lshl_add_u64 v[22:23], v[20:21], 0, 8
                                        ; implicit-def: $vgpr18_vgpr19
	s_and_saveexec_b64 s[0:1], vcc
	s_xor_b64 s[0:1], exec, s[0:1]
	s_cbranch_execz .LBB5_49
; %bb.44:                               ;   in Loop: Header=BB5_3 Depth=1
	v_cmp_ne_u32_e32 vcc, 0, v0
	v_mov_b64_e32 v[18:19], 0
	s_and_saveexec_b64 s[6:7], vcc
	s_cbranch_execz .LBB5_48
; %bb.45:                               ;   in Loop: Header=BB5_3 Depth=1
	s_mov_b64 s[10:11], 0
	v_mov_b64_e32 v[18:19], 0
	s_mov_b64 s[12:13], 0
	s_mov_b64 s[14:15], 0
.LBB5_46:                               ;   Parent Loop BB5_3 Depth=1
                                        ; =>  This Inner Loop Header: Depth=2
	v_lshl_add_u64 v[22:23], v[20:21], 0, s[14:15]
	global_load_ubyte v22, v[22:23], off
	s_add_u32 s14, s14, 1
	v_mov_b32_e32 v23, s16
	s_addc_u32 s15, s15, 0
	v_cmp_eq_u32_e32 vcc, s14, v0
	s_waitcnt vmcnt(0)
	v_and_b32_e32 v22, 0xffff, v22
	v_lshlrev_b64 v[22:23], s12, v[22:23]
	s_add_u32 s12, s12, 8
	s_addc_u32 s13, s13, 0
	v_or_b32_e32 v19, v23, v19
	s_or_b64 s[10:11], vcc, s[10:11]
	v_or_b32_e32 v18, v22, v18
	s_andn2_b64 exec, exec, s[10:11]
	s_cbranch_execnz .LBB5_46
; %bb.47:                               ;   in Loop: Header=BB5_3 Depth=1
	s_or_b64 exec, exec, s[10:11]
.LBB5_48:                               ;   in Loop: Header=BB5_3 Depth=1
	s_or_b64 exec, exec, s[6:7]
	v_mov_b64_e32 v[22:23], v[20:21]
                                        ; implicit-def: $vgpr0
.LBB5_49:                               ;   in Loop: Header=BB5_3 Depth=1
	s_or_saveexec_b64 s[0:1], s[0:1]
	v_mov_b32_e32 v24, 0
	s_xor_b64 exec, exec, s[0:1]
	s_cbranch_execz .LBB5_51
; %bb.50:                               ;   in Loop: Header=BB5_3 Depth=1
	global_load_dwordx2 v[18:19], v[20:21], off
	v_add_u32_e32 v24, -8, v0
.LBB5_51:                               ;   in Loop: Header=BB5_3 Depth=1
	s_or_b64 exec, exec, s[0:1]
	v_cmp_gt_u32_e32 vcc, 8, v24
	s_and_saveexec_b64 s[0:1], vcc
	s_xor_b64 s[0:1], exec, s[0:1]
	s_cbranch_execz .LBB5_57
; %bb.52:                               ;   in Loop: Header=BB5_3 Depth=1
	v_cmp_ne_u32_e32 vcc, 0, v24
	v_mov_b64_e32 v[20:21], 0
	s_and_saveexec_b64 s[6:7], vcc
	s_cbranch_execz .LBB5_56
; %bb.53:                               ;   in Loop: Header=BB5_3 Depth=1
	s_mov_b64 s[10:11], 0
	v_mov_b64_e32 v[20:21], 0
	s_mov_b64 s[12:13], 0
.LBB5_54:                               ;   Parent Loop BB5_3 Depth=1
                                        ; =>  This Inner Loop Header: Depth=2
	global_load_ubyte v0, v[22:23], off
	v_mov_b32_e32 v37, s16
	v_add_u32_e32 v24, -1, v24
	v_cmp_eq_u32_e32 vcc, 0, v24
	v_lshl_add_u64 v[22:23], v[22:23], 0, 1
	s_waitcnt vmcnt(0)
	v_and_b32_e32 v36, 0xffff, v0
	v_lshlrev_b64 v[36:37], s12, v[36:37]
	s_add_u32 s12, s12, 8
	s_addc_u32 s13, s13, 0
	v_or_b32_e32 v21, v37, v21
	s_or_b64 s[10:11], vcc, s[10:11]
	v_or_b32_e32 v20, v36, v20
	s_andn2_b64 exec, exec, s[10:11]
	s_cbranch_execnz .LBB5_54
; %bb.55:                               ;   in Loop: Header=BB5_3 Depth=1
	s_or_b64 exec, exec, s[10:11]
.LBB5_56:                               ;   in Loop: Header=BB5_3 Depth=1
	s_or_b64 exec, exec, s[6:7]
                                        ; implicit-def: $vgpr22_vgpr23
.LBB5_57:                               ;   in Loop: Header=BB5_3 Depth=1
	s_andn2_saveexec_b64 s[0:1], s[0:1]
	s_cbranch_execz .LBB5_59
; %bb.58:                               ;   in Loop: Header=BB5_3 Depth=1
	global_load_dwordx2 v[20:21], v[22:23], off
.LBB5_59:                               ;   in Loop: Header=BB5_3 Depth=1
	s_or_b64 exec, exec, s[0:1]
	v_readfirstlane_b32 s0, v30
	v_mov_b64_e32 v[36:37], 0
	s_nop 0
	v_cmp_eq_u32_e64 s[0:1], s0, v30
	s_and_saveexec_b64 s[6:7], s[0:1]
	s_cbranch_execz .LBB5_65
; %bb.60:                               ;   in Loop: Header=BB5_3 Depth=1
	s_waitcnt lgkmcnt(0)
	global_load_dwordx2 v[24:25], v29, s[4:5] offset:24 sc0 sc1
	s_waitcnt vmcnt(0)
	buffer_inv sc0 sc1
	global_load_dwordx2 v[22:23], v29, s[4:5] offset:40
	global_load_dwordx2 v[36:37], v29, s[4:5]
	s_waitcnt vmcnt(1)
	v_and_b32_e32 v0, v22, v24
	v_and_b32_e32 v22, v23, v25
	v_mul_lo_u32 v22, v22, 24
	v_mul_hi_u32 v23, v0, 24
	v_add_u32_e32 v23, v23, v22
	v_mul_lo_u32 v22, v0, 24
	s_waitcnt vmcnt(0)
	v_lshl_add_u64 v[22:23], v[36:37], 0, v[22:23]
	global_load_dwordx2 v[22:23], v[22:23], off sc0 sc1
	s_waitcnt vmcnt(0)
	global_atomic_cmpswap_x2 v[36:37], v29, v[22:25], s[4:5] offset:24 sc0 sc1
	s_waitcnt vmcnt(0)
	buffer_inv sc0 sc1
	v_cmp_ne_u64_e32 vcc, v[36:37], v[24:25]
	s_and_saveexec_b64 s[10:11], vcc
	s_cbranch_execz .LBB5_64
; %bb.61:                               ;   in Loop: Header=BB5_3 Depth=1
	s_mov_b64 s[12:13], 0
.LBB5_62:                               ;   Parent Loop BB5_3 Depth=1
                                        ; =>  This Inner Loop Header: Depth=2
	s_sleep 1
	global_load_dwordx2 v[22:23], v29, s[4:5] offset:40
	global_load_dwordx2 v[38:39], v29, s[4:5]
	v_mov_b64_e32 v[24:25], v[36:37]
	s_waitcnt vmcnt(1)
	v_and_b32_e32 v0, v22, v24
	v_and_b32_e32 v27, v23, v25
	s_waitcnt vmcnt(0)
	v_mad_u64_u32 v[22:23], s[14:15], v0, 24, v[38:39]
	v_mov_b32_e32 v0, v23
	v_mad_u64_u32 v[36:37], s[14:15], v27, 24, v[0:1]
	v_mov_b32_e32 v23, v36
	global_load_dwordx2 v[22:23], v[22:23], off sc0 sc1
	s_waitcnt vmcnt(0)
	global_atomic_cmpswap_x2 v[36:37], v29, v[22:25], s[4:5] offset:24 sc0 sc1
	s_waitcnt vmcnt(0)
	buffer_inv sc0 sc1
	v_cmp_eq_u64_e32 vcc, v[36:37], v[24:25]
	s_or_b64 s[12:13], vcc, s[12:13]
	s_andn2_b64 exec, exec, s[12:13]
	s_cbranch_execnz .LBB5_62
; %bb.63:                               ;   in Loop: Header=BB5_3 Depth=1
	s_or_b64 exec, exec, s[12:13]
.LBB5_64:                               ;   in Loop: Header=BB5_3 Depth=1
	s_or_b64 exec, exec, s[10:11]
.LBB5_65:                               ;   in Loop: Header=BB5_3 Depth=1
	s_or_b64 exec, exec, s[6:7]
	s_waitcnt lgkmcnt(0)
	global_load_dwordx2 v[38:39], v29, s[4:5] offset:40
	global_load_dwordx4 v[22:25], v29, s[4:5]
	v_readfirstlane_b32 s7, v37
	v_readfirstlane_b32 s6, v36
	s_mov_b64 s[10:11], exec
	s_waitcnt vmcnt(1)
	v_readfirstlane_b32 s12, v38
	v_readfirstlane_b32 s13, v39
	s_and_b64 s[12:13], s[12:13], s[6:7]
	s_mul_i32 s14, s13, 24
	s_mul_hi_u32 s15, s12, 24
	s_add_i32 s15, s15, s14
	s_mul_i32 s14, s12, 24
	s_waitcnt vmcnt(0)
	v_lshl_add_u64 v[36:37], v[22:23], 0, s[14:15]
	s_and_saveexec_b64 s[14:15], s[0:1]
	s_cbranch_execz .LBB5_67
; %bb.66:                               ;   in Loop: Header=BB5_3 Depth=1
	v_mov_b64_e32 v[48:49], s[10:11]
	global_store_dwordx4 v[36:37], v[48:51], off offset:8
.LBB5_67:                               ;   in Loop: Header=BB5_3 Depth=1
	s_or_b64 exec, exec, s[14:15]
	v_cmp_gt_u64_e32 vcc, 57, v[4:5]
	s_lshl_b64 s[10:11], s[12:13], 12
	v_and_b32_e32 v6, 0xffffff1f, v6
	v_cndmask_b32_e32 v0, 0, v26, vcc
	v_lshl_add_u64 v[24:25], v[24:25], 0, s[10:11]
	v_lshl_add_u32 v27, v34, 2, 28
	v_or_b32_e32 v0, v6, v0
	v_and_or_b32 v6, v27, s17, v0
	v_lshlrev_b32_e32 v28, 6, v30
	v_readfirstlane_b32 s10, v24
	v_readfirstlane_b32 s11, v25
	s_nop 4
	global_store_dwordx4 v28, v[6:9], s[10:11]
	global_store_dwordx4 v28, v[10:13], s[10:11] offset:16
	global_store_dwordx4 v28, v[14:17], s[10:11] offset:32
	global_store_dwordx4 v28, v[18:21], s[10:11] offset:48
	s_and_saveexec_b64 s[10:11], s[0:1]
	s_cbranch_execz .LBB5_75
; %bb.68:                               ;   in Loop: Header=BB5_3 Depth=1
	global_load_dwordx2 v[14:15], v29, s[4:5] offset:32 sc0 sc1
	global_load_dwordx2 v[6:7], v29, s[4:5] offset:40
	v_mov_b32_e32 v12, s6
	v_mov_b32_e32 v13, s7
	s_waitcnt vmcnt(0)
	v_readfirstlane_b32 s12, v6
	v_readfirstlane_b32 s13, v7
	s_and_b64 s[12:13], s[12:13], s[6:7]
	s_mul_i32 s13, s13, 24
	s_mul_hi_u32 s14, s12, 24
	s_mul_i32 s12, s12, 24
	s_add_i32 s13, s14, s13
	v_lshl_add_u64 v[10:11], v[22:23], 0, s[12:13]
	global_store_dwordx2 v[10:11], v[14:15], off
	buffer_wbl2 sc0 sc1
	s_waitcnt vmcnt(0)
	global_atomic_cmpswap_x2 v[8:9], v29, v[12:15], s[4:5] offset:32 sc0 sc1
	s_waitcnt vmcnt(0)
	v_cmp_ne_u64_e32 vcc, v[8:9], v[14:15]
	s_and_saveexec_b64 s[12:13], vcc
	s_cbranch_execz .LBB5_71
; %bb.69:                               ;   in Loop: Header=BB5_3 Depth=1
	s_mov_b64 s[14:15], 0
.LBB5_70:                               ;   Parent Loop BB5_3 Depth=1
                                        ; =>  This Inner Loop Header: Depth=2
	s_sleep 1
	global_store_dwordx2 v[10:11], v[8:9], off
	v_mov_b32_e32 v6, s6
	v_mov_b32_e32 v7, s7
	buffer_wbl2 sc0 sc1
	s_waitcnt vmcnt(0)
	global_atomic_cmpswap_x2 v[6:7], v29, v[6:9], s[4:5] offset:32 sc0 sc1
	s_waitcnt vmcnt(0)
	v_cmp_eq_u64_e32 vcc, v[6:7], v[8:9]
	s_or_b64 s[14:15], vcc, s[14:15]
	v_mov_b64_e32 v[8:9], v[6:7]
	s_andn2_b64 exec, exec, s[14:15]
	s_cbranch_execnz .LBB5_70
.LBB5_71:                               ;   in Loop: Header=BB5_3 Depth=1
	s_or_b64 exec, exec, s[12:13]
	global_load_dwordx2 v[6:7], v29, s[4:5] offset:16
	s_mov_b64 s[14:15], exec
	v_mbcnt_lo_u32_b32 v0, s14, 0
	v_mbcnt_hi_u32_b32 v0, s15, v0
	v_cmp_eq_u32_e32 vcc, 0, v0
	s_and_saveexec_b64 s[12:13], vcc
	s_cbranch_execz .LBB5_73
; %bb.72:                               ;   in Loop: Header=BB5_3 Depth=1
	s_bcnt1_i32_b64 s14, s[14:15]
	v_mov_b32_e32 v8, s14
	v_mov_b32_e32 v9, v29
	buffer_wbl2 sc0 sc1
	s_waitcnt vmcnt(0)
	global_atomic_add_x2 v[6:7], v[8:9], off offset:8 sc1
.LBB5_73:                               ;   in Loop: Header=BB5_3 Depth=1
	s_or_b64 exec, exec, s[12:13]
	s_waitcnt vmcnt(0)
	global_load_dwordx2 v[8:9], v[6:7], off offset:16
	s_waitcnt vmcnt(0)
	v_cmp_eq_u64_e32 vcc, 0, v[8:9]
	s_cbranch_vccnz .LBB5_75
; %bb.74:                               ;   in Loop: Header=BB5_3 Depth=1
	global_load_dword v6, v[6:7], off offset:24
	v_mov_b32_e32 v7, v29
	s_waitcnt vmcnt(0)
	v_readfirstlane_b32 s12, v6
	s_and_b32 m0, s12, 0xffffff
	buffer_wbl2 sc0 sc1
	global_store_dwordx2 v[8:9], v[6:7], off sc0 sc1
	s_sendmsg sendmsg(MSG_INTERRUPT)
.LBB5_75:                               ;   in Loop: Header=BB5_3 Depth=1
	s_or_b64 exec, exec, s[10:11]
	v_lshl_add_u64 v[6:7], v[24:25], 0, v[28:29]
	s_branch .LBB5_79
.LBB5_76:                               ;   in Loop: Header=BB5_79 Depth=2
	s_or_b64 exec, exec, s[10:11]
	v_readfirstlane_b32 s10, v0
	s_cmp_eq_u32 s10, 0
	s_cbranch_scc1 .LBB5_78
; %bb.77:                               ;   in Loop: Header=BB5_79 Depth=2
	s_sleep 1
	s_cbranch_execnz .LBB5_79
	s_branch .LBB5_81
.LBB5_78:                               ;   in Loop: Header=BB5_3 Depth=1
	s_branch .LBB5_81
.LBB5_79:                               ;   Parent Loop BB5_3 Depth=1
                                        ; =>  This Inner Loop Header: Depth=2
	v_mov_b32_e32 v0, 1
	s_and_saveexec_b64 s[10:11], s[0:1]
	s_cbranch_execz .LBB5_76
; %bb.80:                               ;   in Loop: Header=BB5_79 Depth=2
	global_load_dword v0, v[36:37], off offset:20 sc0 sc1
	s_waitcnt vmcnt(0)
	buffer_inv sc0 sc1
	v_and_b32_e32 v0, 1, v0
	s_branch .LBB5_76
.LBB5_81:                               ;   in Loop: Header=BB5_3 Depth=1
	global_load_dwordx2 v[6:7], v[6:7], off
	s_and_saveexec_b64 s[10:11], s[0:1]
	s_cbranch_execz .LBB5_2
; %bb.82:                               ;   in Loop: Header=BB5_3 Depth=1
	global_load_dwordx2 v[8:9], v29, s[4:5] offset:40
	global_load_dwordx2 v[16:17], v29, s[4:5] offset:24 sc0 sc1
	global_load_dwordx2 v[10:11], v29, s[4:5]
	s_waitcnt vmcnt(2)
	v_readfirstlane_b32 s12, v8
	v_readfirstlane_b32 s13, v9
	s_add_u32 s14, s12, 1
	s_addc_u32 s15, s13, 0
	s_add_u32 s0, s14, s6
	s_addc_u32 s1, s15, s7
	s_cmp_eq_u64 s[0:1], 0
	s_cselect_b32 s1, s15, s1
	s_cselect_b32 s0, s14, s0
	s_and_b64 s[6:7], s[0:1], s[12:13]
	s_mul_i32 s7, s7, 24
	s_mul_hi_u32 s12, s6, 24
	s_mul_i32 s6, s6, 24
	s_add_i32 s7, s12, s7
	s_waitcnt vmcnt(0)
	v_lshl_add_u64 v[12:13], v[10:11], 0, s[6:7]
	v_mov_b32_e32 v14, s0
	global_store_dwordx2 v[12:13], v[16:17], off
	v_mov_b32_e32 v15, s1
	buffer_wbl2 sc0 sc1
	s_waitcnt vmcnt(0)
	global_atomic_cmpswap_x2 v[10:11], v29, v[14:17], s[4:5] offset:24 sc0 sc1
	s_waitcnt vmcnt(0)
	v_cmp_ne_u64_e32 vcc, v[10:11], v[16:17]
	s_and_b64 exec, exec, vcc
	s_cbranch_execz .LBB5_2
; %bb.83:                               ;   in Loop: Header=BB5_3 Depth=1
	s_mov_b64 s[6:7], 0
.LBB5_84:                               ;   Parent Loop BB5_3 Depth=1
                                        ; =>  This Inner Loop Header: Depth=2
	s_sleep 1
	global_store_dwordx2 v[12:13], v[10:11], off
	v_mov_b32_e32 v8, s0
	v_mov_b32_e32 v9, s1
	buffer_wbl2 sc0 sc1
	s_waitcnt vmcnt(0)
	global_atomic_cmpswap_x2 v[8:9], v29, v[8:11], s[4:5] offset:24 sc0 sc1
	s_waitcnt vmcnt(0)
	v_cmp_eq_u64_e32 vcc, v[8:9], v[10:11]
	s_or_b64 s[6:7], vcc, s[6:7]
	v_mov_b64_e32 v[10:11], v[8:9]
	s_andn2_b64 exec, exec, s[6:7]
	s_cbranch_execnz .LBB5_84
	s_branch .LBB5_2
.LBB5_85:
	s_or_b64 exec, exec, s[2:3]
.LBB5_86:
	s_waitcnt vmcnt(0)
	v_mov_b32_e32 v0, v6
	v_mov_b32_e32 v1, v7
	s_waitcnt lgkmcnt(0)
	s_setpc_b64 s[30:31]
.LBB5_87:
                                        ; implicit-def: $vgpr6_vgpr7
	s_cbranch_execz .LBB5_86
; %bb.88:
	s_load_dwordx2 s[2:3], s[8:9], 0x50
	v_mbcnt_hi_u32_b32 v3, -1, v3
	v_mov_b64_e32 v[8:9], 0
	v_readfirstlane_b32 s0, v3
	s_nop 1
	v_cmp_eq_u32_e64 s[0:1], s0, v3
	s_and_saveexec_b64 s[4:5], s[0:1]
	s_cbranch_execz .LBB5_94
; %bb.89:
	v_mov_b32_e32 v0, 0
	s_waitcnt lgkmcnt(0)
	global_load_dwordx2 v[6:7], v0, s[2:3] offset:24 sc0 sc1
	s_waitcnt vmcnt(0)
	buffer_inv sc0 sc1
	global_load_dwordx2 v[4:5], v0, s[2:3] offset:40
	global_load_dwordx2 v[8:9], v0, s[2:3]
	s_waitcnt vmcnt(1)
	v_and_b32_e32 v4, v4, v6
	v_and_b32_e32 v5, v5, v7
	v_mul_lo_u32 v5, v5, 24
	v_mul_hi_u32 v10, v4, 24
	v_add_u32_e32 v5, v10, v5
	v_mul_lo_u32 v4, v4, 24
	s_waitcnt vmcnt(0)
	v_lshl_add_u64 v[4:5], v[8:9], 0, v[4:5]
	global_load_dwordx2 v[4:5], v[4:5], off sc0 sc1
	s_waitcnt vmcnt(0)
	global_atomic_cmpswap_x2 v[8:9], v0, v[4:7], s[2:3] offset:24 sc0 sc1
	s_waitcnt vmcnt(0)
	buffer_inv sc0 sc1
	v_cmp_ne_u64_e32 vcc, v[8:9], v[6:7]
	s_and_saveexec_b64 s[6:7], vcc
	s_cbranch_execz .LBB5_93
; %bb.90:
	s_mov_b64 s[8:9], 0
.LBB5_91:                               ; =>This Inner Loop Header: Depth=1
	s_sleep 1
	global_load_dwordx2 v[4:5], v0, s[2:3] offset:40
	global_load_dwordx2 v[10:11], v0, s[2:3]
	v_mov_b64_e32 v[6:7], v[8:9]
	s_waitcnt vmcnt(1)
	v_and_b32_e32 v4, v4, v6
	v_and_b32_e32 v9, v5, v7
	s_waitcnt vmcnt(0)
	v_mad_u64_u32 v[4:5], s[10:11], v4, 24, v[10:11]
	v_mov_b32_e32 v8, v5
	v_mad_u64_u32 v[8:9], s[10:11], v9, 24, v[8:9]
	v_mov_b32_e32 v5, v8
	global_load_dwordx2 v[4:5], v[4:5], off sc0 sc1
	s_waitcnt vmcnt(0)
	global_atomic_cmpswap_x2 v[8:9], v0, v[4:7], s[2:3] offset:24 sc0 sc1
	s_waitcnt vmcnt(0)
	buffer_inv sc0 sc1
	v_cmp_eq_u64_e32 vcc, v[8:9], v[6:7]
	s_or_b64 s[8:9], vcc, s[8:9]
	s_andn2_b64 exec, exec, s[8:9]
	s_cbranch_execnz .LBB5_91
; %bb.92:
	s_or_b64 exec, exec, s[8:9]
.LBB5_93:
	s_or_b64 exec, exec, s[6:7]
.LBB5_94:
	s_or_b64 exec, exec, s[4:5]
	v_mov_b32_e32 v11, 0
	s_waitcnt lgkmcnt(0)
	global_load_dwordx2 v[12:13], v11, s[2:3] offset:40
	global_load_dwordx4 v[4:7], v11, s[2:3]
	v_readfirstlane_b32 s5, v9
	v_readfirstlane_b32 s4, v8
	s_mov_b64 s[6:7], exec
	s_waitcnt vmcnt(1)
	v_readfirstlane_b32 s8, v12
	v_readfirstlane_b32 s9, v13
	s_and_b64 s[8:9], s[8:9], s[4:5]
	s_mul_i32 s10, s9, 24
	s_mul_hi_u32 s11, s8, 24
	s_add_i32 s11, s11, s10
	s_mul_i32 s10, s8, 24
	s_waitcnt vmcnt(0)
	v_lshl_add_u64 v[8:9], v[4:5], 0, s[10:11]
	s_and_saveexec_b64 s[10:11], s[0:1]
	s_cbranch_execz .LBB5_96
; %bb.95:
	v_mov_b64_e32 v[12:13], s[6:7]
	v_mov_b32_e32 v14, 2
	v_mov_b32_e32 v15, 1
	global_store_dwordx4 v[8:9], v[12:15], off offset:8
.LBB5_96:
	s_or_b64 exec, exec, s[10:11]
	s_lshl_b64 s[6:7], s[8:9], 12
	v_lshl_add_u64 v[6:7], v[6:7], 0, s[6:7]
	s_movk_i32 s6, 0xff1f
	s_mov_b32 s8, 0
	v_and_or_b32 v0, v2, s6, 32
	v_lshlrev_b32_e32 v10, 6, v3
	v_mov_b32_e32 v2, v11
	v_mov_b32_e32 v3, v11
	v_readfirstlane_b32 s6, v6
	v_readfirstlane_b32 s7, v7
	s_mov_b32 s9, s8
	s_mov_b32 s10, s8
	;; [unrolled: 1-line block ×3, first 2 shown]
	s_nop 1
	global_store_dwordx4 v10, v[0:3], s[6:7]
	s_nop 1
	v_mov_b64_e32 v[0:1], s[8:9]
	v_mov_b64_e32 v[2:3], s[10:11]
	global_store_dwordx4 v10, v[0:3], s[6:7] offset:16
	global_store_dwordx4 v10, v[0:3], s[6:7] offset:32
	;; [unrolled: 1-line block ×3, first 2 shown]
	s_and_saveexec_b64 s[6:7], s[0:1]
	s_cbranch_execz .LBB5_104
; %bb.97:
	v_mov_b32_e32 v12, 0
	global_load_dwordx2 v[16:17], v12, s[2:3] offset:32 sc0 sc1
	global_load_dwordx2 v[0:1], v12, s[2:3] offset:40
	v_mov_b32_e32 v14, s4
	v_mov_b32_e32 v15, s5
	s_waitcnt vmcnt(0)
	v_and_b32_e32 v0, s4, v0
	v_and_b32_e32 v1, s5, v1
	v_mul_lo_u32 v1, v1, 24
	v_mul_hi_u32 v2, v0, 24
	v_mul_lo_u32 v0, v0, 24
	v_add_u32_e32 v1, v2, v1
	v_lshl_add_u64 v[4:5], v[4:5], 0, v[0:1]
	global_store_dwordx2 v[4:5], v[16:17], off
	buffer_wbl2 sc0 sc1
	s_waitcnt vmcnt(0)
	global_atomic_cmpswap_x2 v[2:3], v12, v[14:17], s[2:3] offset:32 sc0 sc1
	s_waitcnt vmcnt(0)
	v_cmp_ne_u64_e32 vcc, v[2:3], v[16:17]
	s_and_saveexec_b64 s[8:9], vcc
	s_cbranch_execz .LBB5_100
; %bb.98:
	s_mov_b64 s[10:11], 0
.LBB5_99:                               ; =>This Inner Loop Header: Depth=1
	s_sleep 1
	global_store_dwordx2 v[4:5], v[2:3], off
	v_mov_b32_e32 v0, s4
	v_mov_b32_e32 v1, s5
	buffer_wbl2 sc0 sc1
	s_waitcnt vmcnt(0)
	global_atomic_cmpswap_x2 v[0:1], v12, v[0:3], s[2:3] offset:32 sc0 sc1
	s_waitcnt vmcnt(0)
	v_cmp_eq_u64_e32 vcc, v[0:1], v[2:3]
	s_or_b64 s[10:11], vcc, s[10:11]
	v_mov_b64_e32 v[2:3], v[0:1]
	s_andn2_b64 exec, exec, s[10:11]
	s_cbranch_execnz .LBB5_99
.LBB5_100:
	s_or_b64 exec, exec, s[8:9]
	v_mov_b32_e32 v3, 0
	global_load_dwordx2 v[0:1], v3, s[2:3] offset:16
	s_mov_b64 s[8:9], exec
	v_mbcnt_lo_u32_b32 v2, s8, 0
	v_mbcnt_hi_u32_b32 v2, s9, v2
	v_cmp_eq_u32_e32 vcc, 0, v2
	s_and_saveexec_b64 s[10:11], vcc
	s_cbranch_execz .LBB5_102
; %bb.101:
	s_bcnt1_i32_b64 s8, s[8:9]
	v_mov_b32_e32 v2, s8
	buffer_wbl2 sc0 sc1
	s_waitcnt vmcnt(0)
	global_atomic_add_x2 v[0:1], v[2:3], off offset:8 sc1
.LBB5_102:
	s_or_b64 exec, exec, s[10:11]
	s_waitcnt vmcnt(0)
	global_load_dwordx2 v[2:3], v[0:1], off offset:16
	s_waitcnt vmcnt(0)
	v_cmp_eq_u64_e32 vcc, 0, v[2:3]
	s_cbranch_vccnz .LBB5_104
; %bb.103:
	global_load_dword v0, v[0:1], off offset:24
	v_mov_b32_e32 v1, 0
	s_waitcnt vmcnt(0)
	v_readfirstlane_b32 s8, v0
	s_and_b32 m0, s8, 0xffffff
	buffer_wbl2 sc0 sc1
	global_store_dwordx2 v[2:3], v[0:1], off sc0 sc1
	s_sendmsg sendmsg(MSG_INTERRUPT)
.LBB5_104:
	s_or_b64 exec, exec, s[6:7]
	v_lshl_add_u64 v[0:1], v[6:7], 0, v[10:11]
	s_branch .LBB5_108
.LBB5_105:                              ;   in Loop: Header=BB5_108 Depth=1
	s_or_b64 exec, exec, s[6:7]
	v_readfirstlane_b32 s6, v2
	s_cmp_eq_u32 s6, 0
	s_cbranch_scc1 .LBB5_107
; %bb.106:                              ;   in Loop: Header=BB5_108 Depth=1
	s_sleep 1
	s_cbranch_execnz .LBB5_108
	s_branch .LBB5_110
.LBB5_107:
	s_branch .LBB5_110
.LBB5_108:                              ; =>This Inner Loop Header: Depth=1
	v_mov_b32_e32 v2, 1
	s_and_saveexec_b64 s[6:7], s[0:1]
	s_cbranch_execz .LBB5_105
; %bb.109:                              ;   in Loop: Header=BB5_108 Depth=1
	global_load_dword v2, v[8:9], off offset:20 sc0 sc1
	s_waitcnt vmcnt(0)
	buffer_inv sc0 sc1
	v_and_b32_e32 v2, 1, v2
	s_branch .LBB5_105
.LBB5_110:
	global_load_dwordx2 v[6:7], v[0:1], off
	s_and_saveexec_b64 s[6:7], s[0:1]
	s_cbranch_execz .LBB5_113
; %bb.111:
	v_mov_b32_e32 v8, 0
	global_load_dwordx2 v[0:1], v8, s[2:3] offset:40
	global_load_dwordx2 v[12:13], v8, s[2:3] offset:24 sc0 sc1
	global_load_dwordx2 v[2:3], v8, s[2:3]
	s_waitcnt vmcnt(2)
	v_readfirstlane_b32 s8, v0
	v_readfirstlane_b32 s9, v1
	s_add_u32 s10, s8, 1
	s_addc_u32 s11, s9, 0
	s_add_u32 s0, s10, s4
	s_addc_u32 s1, s11, s5
	s_cmp_eq_u64 s[0:1], 0
	s_cselect_b32 s1, s11, s1
	s_cselect_b32 s0, s10, s0
	s_and_b64 s[4:5], s[0:1], s[8:9]
	s_mul_i32 s5, s5, 24
	s_mul_hi_u32 s8, s4, 24
	s_mul_i32 s4, s4, 24
	s_add_i32 s5, s8, s5
	s_waitcnt vmcnt(0)
	v_lshl_add_u64 v[4:5], v[2:3], 0, s[4:5]
	v_mov_b32_e32 v10, s0
	global_store_dwordx2 v[4:5], v[12:13], off
	v_mov_b32_e32 v11, s1
	buffer_wbl2 sc0 sc1
	s_waitcnt vmcnt(0)
	global_atomic_cmpswap_x2 v[2:3], v8, v[10:13], s[2:3] offset:24 sc0 sc1
	s_mov_b64 s[4:5], 0
	s_waitcnt vmcnt(0)
	v_cmp_ne_u64_e32 vcc, v[2:3], v[12:13]
	s_and_b64 exec, exec, vcc
	s_cbranch_execz .LBB5_113
.LBB5_112:                              ; =>This Inner Loop Header: Depth=1
	s_sleep 1
	global_store_dwordx2 v[4:5], v[2:3], off
	v_mov_b32_e32 v0, s0
	v_mov_b32_e32 v1, s1
	buffer_wbl2 sc0 sc1
	s_waitcnt vmcnt(0)
	global_atomic_cmpswap_x2 v[0:1], v8, v[0:3], s[2:3] offset:24 sc0 sc1
	s_waitcnt vmcnt(0)
	v_cmp_eq_u64_e32 vcc, v[0:1], v[2:3]
	s_or_b64 s[4:5], vcc, s[4:5]
	v_mov_b64_e32 v[2:3], v[0:1]
	s_andn2_b64 exec, exec, s[4:5]
	s_cbranch_execnz .LBB5_112
.LBB5_113:
	s_or_b64 exec, exec, s[6:7]
	s_waitcnt vmcnt(0)
	v_mov_b32_e32 v0, v6
	v_mov_b32_e32 v1, v7
	s_waitcnt lgkmcnt(0)
	s_setpc_b64 s[30:31]
.Lfunc_end5:
	.size	__ockl_printf_append_string_n, .Lfunc_end5-__ockl_printf_append_string_n
                                        ; -- End function
	.set .L__ockl_printf_append_string_n.num_vgpr, 52
	.set .L__ockl_printf_append_string_n.num_agpr, 0
	.set .L__ockl_printf_append_string_n.numbered_sgpr, 32
	.set .L__ockl_printf_append_string_n.num_named_barrier, 0
	.set .L__ockl_printf_append_string_n.private_seg_size, 0
	.set .L__ockl_printf_append_string_n.uses_vcc, 1
	.set .L__ockl_printf_append_string_n.uses_flat_scratch, 0
	.set .L__ockl_printf_append_string_n.has_dyn_sized_stack, 0
	.set .L__ockl_printf_append_string_n.has_recursion, 0
	.set .L__ockl_printf_append_string_n.has_indirect_call, 0
	.section	.AMDGPU.csdata,"",@progbits
; Function info:
; codeLenInByte = 3812
; TotalNumSgprs: 38
; NumVgprs: 52
; NumAgprs: 0
; TotalNumVgprs: 52
; ScratchSize: 0
; MemoryBound: 0
	.text
	.p2align	2                               ; -- Begin function __ockl_printf_append_args
	.type	__ockl_printf_append_args,@function
__ockl_printf_append_args:              ; @__ockl_printf_append_args
; %bb.0:
	s_waitcnt vmcnt(0) expcnt(0) lgkmcnt(0)
	s_load_dwordx2 s[2:3], s[8:9], 0x50
	v_mbcnt_lo_u32_b32 v5, -1, 0
	v_mbcnt_hi_u32_b32 v5, -1, v5
	v_mov_b64_e32 v[10:11], 0
	v_readfirstlane_b32 s0, v5
	s_nop 1
	v_cmp_eq_u32_e64 s[0:1], s0, v5
	s_and_saveexec_b64 s[4:5], s[0:1]
	s_cbranch_execz .LBB6_6
; %bb.1:
	v_mov_b32_e32 v6, 0
	s_waitcnt lgkmcnt(0)
	global_load_dwordx2 v[12:13], v6, s[2:3] offset:24 sc0 sc1
	s_waitcnt vmcnt(0)
	buffer_inv sc0 sc1
	global_load_dwordx2 v[8:9], v6, s[2:3] offset:40
	global_load_dwordx2 v[10:11], v6, s[2:3]
	s_waitcnt vmcnt(1)
	v_and_b32_e32 v7, v8, v12
	v_and_b32_e32 v8, v9, v13
	v_mul_lo_u32 v8, v8, 24
	v_mul_hi_u32 v9, v7, 24
	v_add_u32_e32 v9, v9, v8
	v_mul_lo_u32 v8, v7, 24
	s_waitcnt vmcnt(0)
	v_lshl_add_u64 v[8:9], v[10:11], 0, v[8:9]
	global_load_dwordx2 v[10:11], v[8:9], off sc0 sc1
	s_waitcnt vmcnt(0)
	global_atomic_cmpswap_x2 v[10:11], v6, v[10:13], s[2:3] offset:24 sc0 sc1
	s_waitcnt vmcnt(0)
	buffer_inv sc0 sc1
	v_cmp_ne_u64_e32 vcc, v[10:11], v[12:13]
	s_and_saveexec_b64 s[6:7], vcc
	s_cbranch_execz .LBB6_5
; %bb.2:
	s_mov_b64 s[8:9], 0
.LBB6_3:                                ; =>This Inner Loop Header: Depth=1
	s_sleep 1
	global_load_dwordx2 v[8:9], v6, s[2:3] offset:40
	global_load_dwordx2 v[14:15], v6, s[2:3]
	v_mov_b64_e32 v[12:13], v[10:11]
	s_waitcnt vmcnt(1)
	v_and_b32_e32 v8, v8, v12
	v_and_b32_e32 v7, v9, v13
	s_waitcnt vmcnt(0)
	v_mad_u64_u32 v[8:9], s[10:11], v8, 24, v[14:15]
	v_mov_b32_e32 v10, v9
	v_mad_u64_u32 v[10:11], s[10:11], v7, 24, v[10:11]
	v_mov_b32_e32 v9, v10
	global_load_dwordx2 v[10:11], v[8:9], off sc0 sc1
	s_waitcnt vmcnt(0)
	global_atomic_cmpswap_x2 v[10:11], v6, v[10:13], s[2:3] offset:24 sc0 sc1
	s_waitcnt vmcnt(0)
	buffer_inv sc0 sc1
	v_cmp_eq_u64_e32 vcc, v[10:11], v[12:13]
	s_or_b64 s[8:9], vcc, s[8:9]
	s_andn2_b64 exec, exec, s[8:9]
	s_cbranch_execnz .LBB6_3
; %bb.4:
	s_or_b64 exec, exec, s[8:9]
.LBB6_5:
	s_or_b64 exec, exec, s[6:7]
.LBB6_6:
	s_or_b64 exec, exec, s[4:5]
	v_mov_b32_e32 v14, 0
	s_waitcnt lgkmcnt(0)
	global_load_dwordx2 v[12:13], v14, s[2:3] offset:40
	global_load_dwordx4 v[6:9], v14, s[2:3]
	v_readfirstlane_b32 s5, v11
	v_readfirstlane_b32 s4, v10
	s_mov_b64 s[6:7], exec
	s_waitcnt vmcnt(1)
	v_readfirstlane_b32 s8, v12
	v_readfirstlane_b32 s9, v13
	s_and_b64 s[8:9], s[8:9], s[4:5]
	s_mul_i32 s10, s9, 24
	s_mul_hi_u32 s11, s8, 24
	s_add_i32 s11, s11, s10
	s_mul_i32 s10, s8, 24
	s_waitcnt vmcnt(0)
	v_lshl_add_u64 v[10:11], v[6:7], 0, s[10:11]
	s_and_saveexec_b64 s[10:11], s[0:1]
	s_cbranch_execz .LBB6_8
; %bb.7:
	v_mov_b64_e32 v[12:13], s[6:7]
	v_mov_b32_e32 v14, 2
	v_mov_b32_e32 v15, 1
	global_store_dwordx4 v[10:11], v[12:15], off offset:8
.LBB6_8:
	s_or_b64 exec, exec, s[10:11]
	s_lshl_b64 s[6:7], s[8:9], 12
	v_or_b32_e32 v12, 2, v0
	v_cmp_eq_u32_e32 vcc, 0, v4
	v_lshl_add_u64 v[8:9], v[8:9], 0, s[6:7]
	s_mov_b32 s8, 0
	v_cndmask_b32_e32 v0, v12, v0, vcc
	s_movk_i32 s6, 0xff1f
	v_and_or_b32 v0, v0, s6, 32
	v_lshlrev_b32_e32 v4, 6, v5
	v_readfirstlane_b32 s6, v8
	v_readfirstlane_b32 s7, v9
	s_mov_b32 s9, s8
	s_mov_b32 s10, s8
	;; [unrolled: 1-line block ×3, first 2 shown]
	s_nop 1
	global_store_dwordx4 v4, v[0:3], s[6:7]
	s_nop 1
	v_mov_b64_e32 v[0:1], s[8:9]
	v_mov_b64_e32 v[2:3], s[10:11]
	global_store_dwordx4 v4, v[0:3], s[6:7] offset:16
	global_store_dwordx4 v4, v[0:3], s[6:7] offset:32
	;; [unrolled: 1-line block ×3, first 2 shown]
	s_and_saveexec_b64 s[6:7], s[0:1]
	s_cbranch_execz .LBB6_16
; %bb.9:
	v_mov_b32_e32 v8, 0
	global_load_dwordx2 v[14:15], v8, s[2:3] offset:32 sc0 sc1
	global_load_dwordx2 v[0:1], v8, s[2:3] offset:40
	v_mov_b32_e32 v12, s4
	v_mov_b32_e32 v13, s5
	s_waitcnt vmcnt(0)
	v_and_b32_e32 v0, s4, v0
	v_and_b32_e32 v1, s5, v1
	v_mul_lo_u32 v1, v1, 24
	v_mul_hi_u32 v2, v0, 24
	v_mul_lo_u32 v0, v0, 24
	v_add_u32_e32 v1, v2, v1
	v_lshl_add_u64 v[4:5], v[6:7], 0, v[0:1]
	global_store_dwordx2 v[4:5], v[14:15], off
	buffer_wbl2 sc0 sc1
	s_waitcnt vmcnt(0)
	global_atomic_cmpswap_x2 v[2:3], v8, v[12:15], s[2:3] offset:32 sc0 sc1
	s_waitcnt vmcnt(0)
	v_cmp_ne_u64_e32 vcc, v[2:3], v[14:15]
	s_and_saveexec_b64 s[8:9], vcc
	s_cbranch_execz .LBB6_12
; %bb.10:
	s_mov_b64 s[10:11], 0
.LBB6_11:                               ; =>This Inner Loop Header: Depth=1
	s_sleep 1
	global_store_dwordx2 v[4:5], v[2:3], off
	v_mov_b32_e32 v0, s4
	v_mov_b32_e32 v1, s5
	buffer_wbl2 sc0 sc1
	s_waitcnt vmcnt(0)
	global_atomic_cmpswap_x2 v[0:1], v8, v[0:3], s[2:3] offset:32 sc0 sc1
	s_waitcnt vmcnt(0)
	v_cmp_eq_u64_e32 vcc, v[0:1], v[2:3]
	s_or_b64 s[10:11], vcc, s[10:11]
	v_mov_b64_e32 v[2:3], v[0:1]
	s_andn2_b64 exec, exec, s[10:11]
	s_cbranch_execnz .LBB6_11
.LBB6_12:
	s_or_b64 exec, exec, s[8:9]
	v_mov_b32_e32 v3, 0
	global_load_dwordx2 v[0:1], v3, s[2:3] offset:16
	s_mov_b64 s[8:9], exec
	v_mbcnt_lo_u32_b32 v2, s8, 0
	v_mbcnt_hi_u32_b32 v2, s9, v2
	v_cmp_eq_u32_e32 vcc, 0, v2
	s_and_saveexec_b64 s[10:11], vcc
	s_cbranch_execz .LBB6_14
; %bb.13:
	s_bcnt1_i32_b64 s8, s[8:9]
	v_mov_b32_e32 v2, s8
	buffer_wbl2 sc0 sc1
	s_waitcnt vmcnt(0)
	global_atomic_add_x2 v[0:1], v[2:3], off offset:8 sc1
.LBB6_14:
	s_or_b64 exec, exec, s[10:11]
	s_waitcnt vmcnt(0)
	global_load_dwordx2 v[2:3], v[0:1], off offset:16
	s_waitcnt vmcnt(0)
	v_cmp_eq_u64_e32 vcc, 0, v[2:3]
	s_cbranch_vccnz .LBB6_16
; %bb.15:
	global_load_dword v0, v[0:1], off offset:24
	v_mov_b32_e32 v1, 0
	s_waitcnt vmcnt(0)
	v_readfirstlane_b32 s8, v0
	s_and_b32 m0, s8, 0xffffff
	buffer_wbl2 sc0 sc1
	global_store_dwordx2 v[2:3], v[0:1], off sc0 sc1
	s_sendmsg sendmsg(MSG_INTERRUPT)
.LBB6_16:
	s_or_b64 exec, exec, s[6:7]
	s_branch .LBB6_20
.LBB6_17:                               ;   in Loop: Header=BB6_20 Depth=1
	s_or_b64 exec, exec, s[6:7]
	v_readfirstlane_b32 s6, v0
	s_cmp_eq_u32 s6, 0
	s_cbranch_scc1 .LBB6_19
; %bb.18:                               ;   in Loop: Header=BB6_20 Depth=1
	s_sleep 1
	s_cbranch_execnz .LBB6_20
	s_branch .LBB6_22
.LBB6_19:
	s_branch .LBB6_22
.LBB6_20:                               ; =>This Inner Loop Header: Depth=1
	v_mov_b32_e32 v0, 1
	s_and_saveexec_b64 s[6:7], s[0:1]
	s_cbranch_execz .LBB6_17
; %bb.21:                               ;   in Loop: Header=BB6_20 Depth=1
	global_load_dword v0, v[10:11], off offset:20 sc0 sc1
	s_waitcnt vmcnt(0)
	buffer_inv sc0 sc1
	v_and_b32_e32 v0, 1, v0
	s_branch .LBB6_17
.LBB6_22:
	s_and_saveexec_b64 s[6:7], s[0:1]
	s_cbranch_execz .LBB6_25
; %bb.23:
	v_mov_b32_e32 v6, 0
	global_load_dwordx2 v[0:1], v6, s[2:3] offset:40
	global_load_dwordx2 v[10:11], v6, s[2:3] offset:24 sc0 sc1
	global_load_dwordx2 v[2:3], v6, s[2:3]
	s_waitcnt vmcnt(2)
	v_readfirstlane_b32 s8, v0
	v_readfirstlane_b32 s9, v1
	s_add_u32 s10, s8, 1
	s_addc_u32 s11, s9, 0
	s_add_u32 s0, s10, s4
	s_addc_u32 s1, s11, s5
	s_cmp_eq_u64 s[0:1], 0
	s_cselect_b32 s1, s11, s1
	s_cselect_b32 s0, s10, s0
	s_and_b64 s[4:5], s[0:1], s[8:9]
	s_mul_i32 s5, s5, 24
	s_mul_hi_u32 s8, s4, 24
	s_mul_i32 s4, s4, 24
	s_add_i32 s5, s8, s5
	s_waitcnt vmcnt(0)
	v_lshl_add_u64 v[4:5], v[2:3], 0, s[4:5]
	v_mov_b32_e32 v8, s0
	global_store_dwordx2 v[4:5], v[10:11], off
	v_mov_b32_e32 v9, s1
	buffer_wbl2 sc0 sc1
	s_waitcnt vmcnt(0)
	global_atomic_cmpswap_x2 v[2:3], v6, v[8:11], s[2:3] offset:24 sc0 sc1
	s_mov_b64 s[4:5], 0
	s_waitcnt vmcnt(0)
	v_cmp_ne_u64_e32 vcc, v[2:3], v[10:11]
	s_and_b64 exec, exec, vcc
	s_cbranch_execz .LBB6_25
.LBB6_24:                               ; =>This Inner Loop Header: Depth=1
	s_sleep 1
	global_store_dwordx2 v[4:5], v[2:3], off
	v_mov_b32_e32 v0, s0
	v_mov_b32_e32 v1, s1
	buffer_wbl2 sc0 sc1
	s_waitcnt vmcnt(0)
	global_atomic_cmpswap_x2 v[0:1], v6, v[0:3], s[2:3] offset:24 sc0 sc1
	s_waitcnt vmcnt(0)
	v_cmp_eq_u64_e32 vcc, v[0:1], v[2:3]
	s_or_b64 s[4:5], vcc, s[4:5]
	v_mov_b64_e32 v[2:3], v[0:1]
	s_andn2_b64 exec, exec, s[4:5]
	s_cbranch_execnz .LBB6_24
.LBB6_25:
	s_or_b64 exec, exec, s[6:7]
	s_waitcnt vmcnt(0) lgkmcnt(0)
	s_setpc_b64 s[30:31]
.Lfunc_end6:
	.size	__ockl_printf_append_args, .Lfunc_end6-__ockl_printf_append_args
                                        ; -- End function
	.set .L__ockl_printf_append_args.num_vgpr, 16
	.set .L__ockl_printf_append_args.num_agpr, 0
	.set .L__ockl_printf_append_args.numbered_sgpr, 32
	.set .L__ockl_printf_append_args.num_named_barrier, 0
	.set .L__ockl_printf_append_args.private_seg_size, 0
	.set .L__ockl_printf_append_args.uses_vcc, 1
	.set .L__ockl_printf_append_args.uses_flat_scratch, 0
	.set .L__ockl_printf_append_args.has_dyn_sized_stack, 0
	.set .L__ockl_printf_append_args.has_recursion, 0
	.set .L__ockl_printf_append_args.has_indirect_call, 0
	.section	.AMDGPU.csdata,"",@progbits
; Function info:
; codeLenInByte = 1216
; TotalNumSgprs: 38
; NumVgprs: 16
; NumAgprs: 0
; TotalNumVgprs: 16
; ScratchSize: 0
; MemoryBound: 0
	.text
	.p2align	2                               ; -- Begin function _ZL14no_device_codePKciS0_iS0_
	.type	_ZL14no_device_codePKciS0_iS0_,@function
_ZL14no_device_codePKciS0_iS0_:         ; @_ZL14no_device_codePKciS0_iS0_
; %bb.0:
	s_waitcnt vmcnt(0) expcnt(0) lgkmcnt(0)
	s_mov_b32 s20, s33
	s_mov_b32 s33, s32
	s_or_saveexec_b64 s[0:1], -1
	scratch_store_dword off, v40, s33       ; 4-byte Folded Spill
	s_mov_b64 exec, s[0:1]
	v_writelane_b32 v40, s30, 0
	s_add_i32 s32, s32, 16
	s_nop 0
	v_writelane_b32 v40, s31, 1
	s_load_dwordx2 s[2:3], s[8:9], 0x50
	v_mbcnt_lo_u32_b32 v0, -1, 0
	v_mbcnt_hi_u32_b32 v25, -1, v0
	v_mov_b64_e32 v[4:5], 0
	v_readfirstlane_b32 s0, v25
	s_nop 1
	v_cmp_eq_u32_e64 s[0:1], s0, v25
	s_and_saveexec_b64 s[4:5], s[0:1]
	s_cbranch_execz .LBB7_6
; %bb.1:
	v_mov_b32_e32 v0, 0
	s_waitcnt lgkmcnt(0)
	global_load_dwordx2 v[6:7], v0, s[2:3] offset:24 sc0 sc1
	s_waitcnt vmcnt(0)
	buffer_inv sc0 sc1
	global_load_dwordx2 v[2:3], v0, s[2:3] offset:40
	global_load_dwordx2 v[4:5], v0, s[2:3]
	s_waitcnt vmcnt(1)
	v_and_b32_e32 v1, v2, v6
	v_and_b32_e32 v2, v3, v7
	v_mul_lo_u32 v2, v2, 24
	v_mul_hi_u32 v3, v1, 24
	v_add_u32_e32 v3, v3, v2
	v_mul_lo_u32 v2, v1, 24
	s_waitcnt vmcnt(0)
	v_lshl_add_u64 v[2:3], v[4:5], 0, v[2:3]
	global_load_dwordx2 v[4:5], v[2:3], off sc0 sc1
	s_waitcnt vmcnt(0)
	global_atomic_cmpswap_x2 v[4:5], v0, v[4:7], s[2:3] offset:24 sc0 sc1
	s_waitcnt vmcnt(0)
	buffer_inv sc0 sc1
	v_cmp_ne_u64_e32 vcc, v[4:5], v[6:7]
	s_and_saveexec_b64 s[6:7], vcc
	s_cbranch_execz .LBB7_5
; %bb.2:
	s_mov_b64 s[10:11], 0
.LBB7_3:                                ; =>This Inner Loop Header: Depth=1
	s_sleep 1
	global_load_dwordx2 v[2:3], v0, s[2:3] offset:40
	global_load_dwordx2 v[8:9], v0, s[2:3]
	v_mov_b64_e32 v[6:7], v[4:5]
	s_waitcnt vmcnt(1)
	v_and_b32_e32 v2, v2, v6
	v_and_b32_e32 v1, v3, v7
	s_waitcnt vmcnt(0)
	v_mad_u64_u32 v[2:3], s[12:13], v2, 24, v[8:9]
	v_mov_b32_e32 v4, v3
	v_mad_u64_u32 v[4:5], s[12:13], v1, 24, v[4:5]
	v_mov_b32_e32 v3, v4
	global_load_dwordx2 v[4:5], v[2:3], off sc0 sc1
	s_waitcnt vmcnt(0)
	global_atomic_cmpswap_x2 v[4:5], v0, v[4:7], s[2:3] offset:24 sc0 sc1
	s_waitcnt vmcnt(0)
	buffer_inv sc0 sc1
	v_cmp_eq_u64_e32 vcc, v[4:5], v[6:7]
	s_or_b64 s[10:11], vcc, s[10:11]
	s_andn2_b64 exec, exec, s[10:11]
	s_cbranch_execnz .LBB7_3
; %bb.4:
	s_or_b64 exec, exec, s[10:11]
.LBB7_5:
	s_or_b64 exec, exec, s[6:7]
.LBB7_6:
	s_or_b64 exec, exec, s[4:5]
	v_mov_b32_e32 v23, 0
	s_waitcnt lgkmcnt(0)
	global_load_dwordx2 v[6:7], v23, s[2:3] offset:40
	global_load_dwordx4 v[0:3], v23, s[2:3]
	v_readfirstlane_b32 s5, v5
	v_readfirstlane_b32 s4, v4
	s_mov_b64 s[6:7], exec
	s_waitcnt vmcnt(1)
	v_readfirstlane_b32 s10, v6
	v_readfirstlane_b32 s11, v7
	s_and_b64 s[10:11], s[10:11], s[4:5]
	s_mul_i32 s12, s11, 24
	s_mul_hi_u32 s13, s10, 24
	s_add_i32 s13, s13, s12
	s_mul_i32 s12, s10, 24
	s_waitcnt vmcnt(0)
	v_lshl_add_u64 v[4:5], v[0:1], 0, s[12:13]
	s_and_saveexec_b64 s[12:13], s[0:1]
	s_cbranch_execz .LBB7_8
; %bb.7:
	v_mov_b64_e32 v[6:7], s[6:7]
	v_mov_b32_e32 v8, 2
	v_mov_b32_e32 v9, 1
	global_store_dwordx4 v[4:5], v[6:9], off offset:8
.LBB7_8:
	s_or_b64 exec, exec, s[12:13]
	s_lshl_b64 s[6:7], s[10:11], 12
	v_lshl_add_u64 v[6:7], v[2:3], 0, s[6:7]
	s_mov_b32 s12, 0
	v_lshlrev_b32_e32 v22, 6, v25
	v_mov_b32_e32 v8, 33
	v_mov_b32_e32 v9, v23
	;; [unrolled: 1-line block ×4, first 2 shown]
	v_readfirstlane_b32 s6, v6
	v_readfirstlane_b32 s7, v7
	s_mov_b32 s13, s12
	s_mov_b32 s14, s12
	;; [unrolled: 1-line block ×3, first 2 shown]
	s_nop 1
	global_store_dwordx4 v22, v[8:11], s[6:7]
	s_nop 1
	v_mov_b64_e32 v[8:9], s[12:13]
	v_mov_b64_e32 v[10:11], s[14:15]
	global_store_dwordx4 v22, v[8:11], s[6:7] offset:16
	global_store_dwordx4 v22, v[8:11], s[6:7] offset:32
	;; [unrolled: 1-line block ×3, first 2 shown]
	s_and_saveexec_b64 s[6:7], s[0:1]
	s_cbranch_execz .LBB7_16
; %bb.9:
	v_mov_b32_e32 v10, 0
	global_load_dwordx2 v[14:15], v10, s[2:3] offset:32 sc0 sc1
	global_load_dwordx2 v[2:3], v10, s[2:3] offset:40
	v_mov_b32_e32 v12, s4
	v_mov_b32_e32 v13, s5
	s_waitcnt vmcnt(0)
	v_and_b32_e32 v2, s4, v2
	v_and_b32_e32 v3, s5, v3
	v_mul_lo_u32 v3, v3, 24
	v_mul_hi_u32 v8, v2, 24
	v_mul_lo_u32 v2, v2, 24
	v_add_u32_e32 v3, v8, v3
	v_lshl_add_u64 v[8:9], v[0:1], 0, v[2:3]
	global_store_dwordx2 v[8:9], v[14:15], off
	buffer_wbl2 sc0 sc1
	s_waitcnt vmcnt(0)
	global_atomic_cmpswap_x2 v[2:3], v10, v[12:15], s[2:3] offset:32 sc0 sc1
	s_waitcnt vmcnt(0)
	v_cmp_ne_u64_e32 vcc, v[2:3], v[14:15]
	s_and_saveexec_b64 s[10:11], vcc
	s_cbranch_execz .LBB7_12
; %bb.10:
	s_mov_b64 s[12:13], 0
.LBB7_11:                               ; =>This Inner Loop Header: Depth=1
	s_sleep 1
	global_store_dwordx2 v[8:9], v[2:3], off
	v_mov_b32_e32 v0, s4
	v_mov_b32_e32 v1, s5
	buffer_wbl2 sc0 sc1
	s_waitcnt vmcnt(0)
	global_atomic_cmpswap_x2 v[0:1], v10, v[0:3], s[2:3] offset:32 sc0 sc1
	s_waitcnt vmcnt(0)
	v_cmp_eq_u64_e32 vcc, v[0:1], v[2:3]
	s_or_b64 s[12:13], vcc, s[12:13]
	v_mov_b64_e32 v[2:3], v[0:1]
	s_andn2_b64 exec, exec, s[12:13]
	s_cbranch_execnz .LBB7_11
.LBB7_12:
	s_or_b64 exec, exec, s[10:11]
	v_mov_b32_e32 v3, 0
	global_load_dwordx2 v[0:1], v3, s[2:3] offset:16
	s_mov_b64 s[10:11], exec
	v_mbcnt_lo_u32_b32 v2, s10, 0
	v_mbcnt_hi_u32_b32 v2, s11, v2
	v_cmp_eq_u32_e32 vcc, 0, v2
	s_and_saveexec_b64 s[12:13], vcc
	s_cbranch_execz .LBB7_14
; %bb.13:
	s_bcnt1_i32_b64 s10, s[10:11]
	v_mov_b32_e32 v2, s10
	buffer_wbl2 sc0 sc1
	s_waitcnt vmcnt(0)
	global_atomic_add_x2 v[0:1], v[2:3], off offset:8 sc1
.LBB7_14:
	s_or_b64 exec, exec, s[12:13]
	s_waitcnt vmcnt(0)
	global_load_dwordx2 v[2:3], v[0:1], off offset:16
	s_waitcnt vmcnt(0)
	v_cmp_eq_u64_e32 vcc, 0, v[2:3]
	s_cbranch_vccnz .LBB7_16
; %bb.15:
	global_load_dword v0, v[0:1], off offset:24
	v_mov_b32_e32 v1, 0
	s_waitcnt vmcnt(0)
	v_readfirstlane_b32 s10, v0
	s_and_b32 m0, s10, 0xffffff
	buffer_wbl2 sc0 sc1
	global_store_dwordx2 v[2:3], v[0:1], off sc0 sc1
	s_sendmsg sendmsg(MSG_INTERRUPT)
.LBB7_16:
	s_or_b64 exec, exec, s[6:7]
	v_lshl_add_u64 v[0:1], v[6:7], 0, v[22:23]
	s_branch .LBB7_20
.LBB7_17:                               ;   in Loop: Header=BB7_20 Depth=1
	s_or_b64 exec, exec, s[6:7]
	v_readfirstlane_b32 s6, v2
	s_cmp_eq_u32 s6, 0
	s_cbranch_scc1 .LBB7_19
; %bb.18:                               ;   in Loop: Header=BB7_20 Depth=1
	s_sleep 1
	s_cbranch_execnz .LBB7_20
	s_branch .LBB7_22
.LBB7_19:
	s_branch .LBB7_22
.LBB7_20:                               ; =>This Inner Loop Header: Depth=1
	v_mov_b32_e32 v2, 1
	s_and_saveexec_b64 s[6:7], s[0:1]
	s_cbranch_execz .LBB7_17
; %bb.21:                               ;   in Loop: Header=BB7_20 Depth=1
	global_load_dword v2, v[4:5], off offset:20 sc0 sc1
	s_waitcnt vmcnt(0)
	buffer_inv sc0 sc1
	v_and_b32_e32 v2, 1, v2
	s_branch .LBB7_17
.LBB7_22:
	global_load_dwordx2 v[4:5], v[0:1], off
	s_and_saveexec_b64 s[6:7], s[0:1]
	s_cbranch_execz .LBB7_25
; %bb.23:
	v_mov_b32_e32 v8, 0
	global_load_dwordx2 v[0:1], v8, s[2:3] offset:40
	global_load_dwordx2 v[12:13], v8, s[2:3] offset:24 sc0 sc1
	global_load_dwordx2 v[2:3], v8, s[2:3]
	s_waitcnt vmcnt(2)
	v_readfirstlane_b32 s10, v0
	v_readfirstlane_b32 s11, v1
	s_add_u32 s12, s10, 1
	s_addc_u32 s13, s11, 0
	s_add_u32 s0, s12, s4
	s_addc_u32 s1, s13, s5
	s_cmp_eq_u64 s[0:1], 0
	s_cselect_b32 s1, s13, s1
	s_cselect_b32 s0, s12, s0
	s_and_b64 s[4:5], s[0:1], s[10:11]
	s_mul_i32 s5, s5, 24
	s_mul_hi_u32 s10, s4, 24
	s_mul_i32 s4, s4, 24
	s_add_i32 s5, s10, s5
	s_waitcnt vmcnt(0)
	v_lshl_add_u64 v[6:7], v[2:3], 0, s[4:5]
	v_mov_b32_e32 v10, s0
	global_store_dwordx2 v[6:7], v[12:13], off
	v_mov_b32_e32 v11, s1
	buffer_wbl2 sc0 sc1
	s_waitcnt vmcnt(0)
	global_atomic_cmpswap_x2 v[2:3], v8, v[10:13], s[2:3] offset:24 sc0 sc1
	s_mov_b64 s[4:5], 0
	s_waitcnt vmcnt(0)
	v_cmp_ne_u64_e32 vcc, v[2:3], v[12:13]
	s_and_b64 exec, exec, vcc
	s_cbranch_execz .LBB7_25
.LBB7_24:                               ; =>This Inner Loop Header: Depth=1
	s_sleep 1
	global_store_dwordx2 v[6:7], v[2:3], off
	v_mov_b32_e32 v0, s0
	v_mov_b32_e32 v1, s1
	buffer_wbl2 sc0 sc1
	s_waitcnt vmcnt(0)
	global_atomic_cmpswap_x2 v[0:1], v8, v[0:3], s[2:3] offset:24 sc0 sc1
	s_waitcnt vmcnt(0)
	v_cmp_eq_u64_e32 vcc, v[0:1], v[2:3]
	s_or_b64 s[4:5], vcc, s[4:5]
	v_mov_b64_e32 v[2:3], v[0:1]
	s_andn2_b64 exec, exec, s[4:5]
	s_cbranch_execnz .LBB7_24
.LBB7_25:
	s_or_b64 exec, exec, s[6:7]
	s_getpc_b64 s[4:5]
	s_add_u32 s4, s4, .str.5@rel32@lo+4
	s_addc_u32 s5, s5, .str.5@rel32@hi+12
	s_cmp_lg_u64 s[4:5], 0
	s_cbranch_scc0 .LBB7_110
; %bb.26:
	s_waitcnt vmcnt(0)
	v_and_b32_e32 v24, 2, v4
	v_mov_b32_e32 v27, 0
	v_and_b32_e32 v0, -3, v4
	v_mov_b32_e32 v1, v5
	s_mov_b64 s[6:7], 0x4d
	v_mov_b32_e32 v32, 2
	v_mov_b32_e32 v33, 1
	s_branch .LBB7_28
.LBB7_27:                               ;   in Loop: Header=BB7_28 Depth=1
	s_or_b64 exec, exec, s[14:15]
	s_sub_u32 s6, s6, s10
	s_subb_u32 s7, s7, s11
	s_add_u32 s4, s4, s10
	s_addc_u32 s5, s5, s11
	s_cmp_lg_u64 s[6:7], 0
	s_cbranch_scc0 .LBB7_111
.LBB7_28:                               ; =>This Loop Header: Depth=1
                                        ;     Child Loop BB7_31 Depth 2
                                        ;     Child Loop BB7_39 Depth 2
	;; [unrolled: 1-line block ×11, first 2 shown]
	v_cmp_lt_u64_e64 s[0:1], s[6:7], 56
	s_and_b64 s[0:1], s[0:1], exec
	s_cselect_b32 s11, s7, 0
	s_cselect_b32 s10, s6, 56
	v_cmp_gt_u64_e64 s[12:13], s[6:7], 7
	s_add_u32 s0, s4, 8
	s_addc_u32 s1, s5, 0
	s_and_b64 vcc, exec, s[12:13]
	s_cbranch_vccnz .LBB7_32
; %bb.29:                               ;   in Loop: Header=BB7_28 Depth=1
	s_cmp_eq_u64 s[6:7], 0
	s_cbranch_scc1 .LBB7_33
; %bb.30:                               ;   in Loop: Header=BB7_28 Depth=1
	s_lshl_b64 s[0:1], s[10:11], 3
	s_mov_b64 s[12:13], 0
	v_mov_b64_e32 v[2:3], 0
	s_mov_b64 s[14:15], s[4:5]
.LBB7_31:                               ;   Parent Loop BB7_28 Depth=1
                                        ; =>  This Inner Loop Header: Depth=2
	global_load_ubyte v6, v27, s[14:15]
	s_waitcnt vmcnt(0)
	v_and_b32_e32 v26, 0xffff, v6
	v_lshlrev_b64 v[6:7], s12, v[26:27]
	s_add_u32 s12, s12, 8
	s_addc_u32 s13, s13, 0
	s_add_u32 s14, s14, 1
	s_addc_u32 s15, s15, 0
	v_or_b32_e32 v2, v6, v2
	s_cmp_lg_u32 s0, s12
	v_or_b32_e32 v3, v7, v3
	s_cbranch_scc1 .LBB7_31
	s_branch .LBB7_34
.LBB7_32:                               ;   in Loop: Header=BB7_28 Depth=1
	s_mov_b32 s16, 0
	s_branch .LBB7_35
.LBB7_33:                               ;   in Loop: Header=BB7_28 Depth=1
	v_mov_b64_e32 v[2:3], 0
.LBB7_34:                               ;   in Loop: Header=BB7_28 Depth=1
	s_mov_b64 s[0:1], s[4:5]
	s_mov_b32 s16, 0
	s_cbranch_execnz .LBB7_36
.LBB7_35:                               ;   in Loop: Header=BB7_28 Depth=1
	global_load_dwordx2 v[2:3], v27, s[4:5]
	s_add_i32 s16, s10, -8
.LBB7_36:                               ;   in Loop: Header=BB7_28 Depth=1
	s_add_u32 s12, s0, 8
	s_addc_u32 s13, s1, 0
	s_cmp_gt_u32 s16, 7
	s_cbranch_scc1 .LBB7_40
; %bb.37:                               ;   in Loop: Header=BB7_28 Depth=1
	s_cmp_eq_u32 s16, 0
	s_cbranch_scc1 .LBB7_41
; %bb.38:                               ;   in Loop: Header=BB7_28 Depth=1
	s_mov_b64 s[12:13], 0
	v_mov_b64_e32 v[6:7], 0
	s_mov_b64 s[14:15], 0
.LBB7_39:                               ;   Parent Loop BB7_28 Depth=1
                                        ; =>  This Inner Loop Header: Depth=2
	s_add_u32 s18, s0, s14
	s_addc_u32 s19, s1, s15
	global_load_ubyte v8, v27, s[18:19]
	s_add_u32 s14, s14, 1
	s_addc_u32 s15, s15, 0
	s_waitcnt vmcnt(0)
	v_and_b32_e32 v26, 0xffff, v8
	v_lshlrev_b64 v[8:9], s12, v[26:27]
	s_add_u32 s12, s12, 8
	s_addc_u32 s13, s13, 0
	v_or_b32_e32 v6, v8, v6
	s_cmp_lg_u32 s16, s14
	v_or_b32_e32 v7, v9, v7
	s_cbranch_scc1 .LBB7_39
	s_branch .LBB7_42
.LBB7_40:                               ;   in Loop: Header=BB7_28 Depth=1
                                        ; implicit-def: $vgpr6_vgpr7
	s_mov_b32 s17, 0
	s_branch .LBB7_43
.LBB7_41:                               ;   in Loop: Header=BB7_28 Depth=1
	v_mov_b64_e32 v[6:7], 0
.LBB7_42:                               ;   in Loop: Header=BB7_28 Depth=1
	s_mov_b64 s[12:13], s[0:1]
	s_mov_b32 s17, 0
	s_cbranch_execnz .LBB7_44
.LBB7_43:                               ;   in Loop: Header=BB7_28 Depth=1
	global_load_dwordx2 v[6:7], v27, s[0:1]
	s_add_i32 s17, s16, -8
.LBB7_44:                               ;   in Loop: Header=BB7_28 Depth=1
	s_add_u32 s0, s12, 8
	s_addc_u32 s1, s13, 0
	s_cmp_gt_u32 s17, 7
	s_cbranch_scc1 .LBB7_48
; %bb.45:                               ;   in Loop: Header=BB7_28 Depth=1
	s_cmp_eq_u32 s17, 0
	s_cbranch_scc1 .LBB7_49
; %bb.46:                               ;   in Loop: Header=BB7_28 Depth=1
	s_mov_b64 s[0:1], 0
	v_mov_b64_e32 v[8:9], 0
	s_mov_b64 s[14:15], 0
.LBB7_47:                               ;   Parent Loop BB7_28 Depth=1
                                        ; =>  This Inner Loop Header: Depth=2
	s_add_u32 s18, s12, s14
	s_addc_u32 s19, s13, s15
	global_load_ubyte v10, v27, s[18:19]
	s_add_u32 s14, s14, 1
	s_addc_u32 s15, s15, 0
	s_waitcnt vmcnt(0)
	v_and_b32_e32 v26, 0xffff, v10
	v_lshlrev_b64 v[10:11], s0, v[26:27]
	s_add_u32 s0, s0, 8
	s_addc_u32 s1, s1, 0
	v_or_b32_e32 v8, v10, v8
	s_cmp_lg_u32 s17, s14
	v_or_b32_e32 v9, v11, v9
	s_cbranch_scc1 .LBB7_47
	s_branch .LBB7_50
.LBB7_48:                               ;   in Loop: Header=BB7_28 Depth=1
	s_mov_b32 s16, 0
	s_branch .LBB7_51
.LBB7_49:                               ;   in Loop: Header=BB7_28 Depth=1
	v_mov_b64_e32 v[8:9], 0
.LBB7_50:                               ;   in Loop: Header=BB7_28 Depth=1
	s_mov_b64 s[0:1], s[12:13]
	s_mov_b32 s16, 0
	s_cbranch_execnz .LBB7_52
.LBB7_51:                               ;   in Loop: Header=BB7_28 Depth=1
	global_load_dwordx2 v[8:9], v27, s[12:13]
	s_add_i32 s16, s17, -8
.LBB7_52:                               ;   in Loop: Header=BB7_28 Depth=1
	s_add_u32 s12, s0, 8
	s_addc_u32 s13, s1, 0
	s_cmp_gt_u32 s16, 7
	s_cbranch_scc1 .LBB7_56
; %bb.53:                               ;   in Loop: Header=BB7_28 Depth=1
	s_cmp_eq_u32 s16, 0
	s_cbranch_scc1 .LBB7_57
; %bb.54:                               ;   in Loop: Header=BB7_28 Depth=1
	s_mov_b64 s[12:13], 0
	v_mov_b64_e32 v[10:11], 0
	s_mov_b64 s[14:15], 0
.LBB7_55:                               ;   Parent Loop BB7_28 Depth=1
                                        ; =>  This Inner Loop Header: Depth=2
	s_add_u32 s18, s0, s14
	s_addc_u32 s19, s1, s15
	global_load_ubyte v12, v27, s[18:19]
	s_add_u32 s14, s14, 1
	s_addc_u32 s15, s15, 0
	s_waitcnt vmcnt(0)
	v_and_b32_e32 v26, 0xffff, v12
	v_lshlrev_b64 v[12:13], s12, v[26:27]
	s_add_u32 s12, s12, 8
	s_addc_u32 s13, s13, 0
	v_or_b32_e32 v10, v12, v10
	s_cmp_lg_u32 s16, s14
	v_or_b32_e32 v11, v13, v11
	s_cbranch_scc1 .LBB7_55
	s_branch .LBB7_58
.LBB7_56:                               ;   in Loop: Header=BB7_28 Depth=1
                                        ; implicit-def: $vgpr10_vgpr11
	s_mov_b32 s17, 0
	s_branch .LBB7_59
.LBB7_57:                               ;   in Loop: Header=BB7_28 Depth=1
	v_mov_b64_e32 v[10:11], 0
.LBB7_58:                               ;   in Loop: Header=BB7_28 Depth=1
	s_mov_b64 s[12:13], s[0:1]
	s_mov_b32 s17, 0
	s_cbranch_execnz .LBB7_60
.LBB7_59:                               ;   in Loop: Header=BB7_28 Depth=1
	global_load_dwordx2 v[10:11], v27, s[0:1]
	s_add_i32 s17, s16, -8
.LBB7_60:                               ;   in Loop: Header=BB7_28 Depth=1
	s_add_u32 s0, s12, 8
	s_addc_u32 s1, s13, 0
	s_cmp_gt_u32 s17, 7
	s_cbranch_scc1 .LBB7_64
; %bb.61:                               ;   in Loop: Header=BB7_28 Depth=1
	s_cmp_eq_u32 s17, 0
	s_cbranch_scc1 .LBB7_65
; %bb.62:                               ;   in Loop: Header=BB7_28 Depth=1
	s_mov_b64 s[0:1], 0
	v_mov_b64_e32 v[12:13], 0
	s_mov_b64 s[14:15], 0
.LBB7_63:                               ;   Parent Loop BB7_28 Depth=1
                                        ; =>  This Inner Loop Header: Depth=2
	s_add_u32 s18, s12, s14
	s_addc_u32 s19, s13, s15
	global_load_ubyte v14, v27, s[18:19]
	s_add_u32 s14, s14, 1
	s_addc_u32 s15, s15, 0
	s_waitcnt vmcnt(0)
	v_and_b32_e32 v26, 0xffff, v14
	v_lshlrev_b64 v[14:15], s0, v[26:27]
	s_add_u32 s0, s0, 8
	s_addc_u32 s1, s1, 0
	v_or_b32_e32 v12, v14, v12
	s_cmp_lg_u32 s17, s14
	v_or_b32_e32 v13, v15, v13
	s_cbranch_scc1 .LBB7_63
	s_branch .LBB7_66
.LBB7_64:                               ;   in Loop: Header=BB7_28 Depth=1
	s_mov_b32 s16, 0
	s_branch .LBB7_67
.LBB7_65:                               ;   in Loop: Header=BB7_28 Depth=1
	v_mov_b64_e32 v[12:13], 0
.LBB7_66:                               ;   in Loop: Header=BB7_28 Depth=1
	s_mov_b64 s[0:1], s[12:13]
	s_mov_b32 s16, 0
	s_cbranch_execnz .LBB7_68
.LBB7_67:                               ;   in Loop: Header=BB7_28 Depth=1
	global_load_dwordx2 v[12:13], v27, s[12:13]
	s_add_i32 s16, s17, -8
.LBB7_68:                               ;   in Loop: Header=BB7_28 Depth=1
	s_add_u32 s12, s0, 8
	s_addc_u32 s13, s1, 0
	s_cmp_gt_u32 s16, 7
	s_cbranch_scc1 .LBB7_72
; %bb.69:                               ;   in Loop: Header=BB7_28 Depth=1
	s_cmp_eq_u32 s16, 0
	s_cbranch_scc1 .LBB7_73
; %bb.70:                               ;   in Loop: Header=BB7_28 Depth=1
	s_mov_b64 s[12:13], 0
	v_mov_b64_e32 v[14:15], 0
	s_mov_b64 s[14:15], 0
.LBB7_71:                               ;   Parent Loop BB7_28 Depth=1
                                        ; =>  This Inner Loop Header: Depth=2
	s_add_u32 s18, s0, s14
	s_addc_u32 s19, s1, s15
	global_load_ubyte v16, v27, s[18:19]
	s_add_u32 s14, s14, 1
	s_addc_u32 s15, s15, 0
	s_waitcnt vmcnt(0)
	v_and_b32_e32 v26, 0xffff, v16
	v_lshlrev_b64 v[16:17], s12, v[26:27]
	s_add_u32 s12, s12, 8
	s_addc_u32 s13, s13, 0
	v_or_b32_e32 v14, v16, v14
	s_cmp_lg_u32 s16, s14
	v_or_b32_e32 v15, v17, v15
	s_cbranch_scc1 .LBB7_71
	s_branch .LBB7_74
.LBB7_72:                               ;   in Loop: Header=BB7_28 Depth=1
                                        ; implicit-def: $vgpr14_vgpr15
	s_mov_b32 s17, 0
	s_branch .LBB7_75
.LBB7_73:                               ;   in Loop: Header=BB7_28 Depth=1
	v_mov_b64_e32 v[14:15], 0
.LBB7_74:                               ;   in Loop: Header=BB7_28 Depth=1
	s_mov_b64 s[12:13], s[0:1]
	s_mov_b32 s17, 0
	s_cbranch_execnz .LBB7_76
.LBB7_75:                               ;   in Loop: Header=BB7_28 Depth=1
	global_load_dwordx2 v[14:15], v27, s[0:1]
	s_add_i32 s17, s16, -8
.LBB7_76:                               ;   in Loop: Header=BB7_28 Depth=1
	s_cmp_gt_u32 s17, 7
	s_cbranch_scc1 .LBB7_80
; %bb.77:                               ;   in Loop: Header=BB7_28 Depth=1
	s_cmp_eq_u32 s17, 0
	s_cbranch_scc1 .LBB7_81
; %bb.78:                               ;   in Loop: Header=BB7_28 Depth=1
	s_mov_b64 s[0:1], 0
	v_mov_b64_e32 v[16:17], 0
	s_mov_b64 s[14:15], s[12:13]
.LBB7_79:                               ;   Parent Loop BB7_28 Depth=1
                                        ; =>  This Inner Loop Header: Depth=2
	global_load_ubyte v18, v27, s[14:15]
	s_add_i32 s17, s17, -1
	s_waitcnt vmcnt(0)
	v_and_b32_e32 v26, 0xffff, v18
	v_lshlrev_b64 v[18:19], s0, v[26:27]
	s_add_u32 s0, s0, 8
	s_addc_u32 s1, s1, 0
	s_add_u32 s14, s14, 1
	s_addc_u32 s15, s15, 0
	v_or_b32_e32 v16, v18, v16
	s_cmp_lg_u32 s17, 0
	v_or_b32_e32 v17, v19, v17
	s_cbranch_scc1 .LBB7_79
	s_branch .LBB7_82
.LBB7_80:                               ;   in Loop: Header=BB7_28 Depth=1
	s_branch .LBB7_83
.LBB7_81:                               ;   in Loop: Header=BB7_28 Depth=1
	v_mov_b64_e32 v[16:17], 0
.LBB7_82:                               ;   in Loop: Header=BB7_28 Depth=1
	s_cbranch_execnz .LBB7_84
.LBB7_83:                               ;   in Loop: Header=BB7_28 Depth=1
	global_load_dwordx2 v[16:17], v27, s[12:13]
.LBB7_84:                               ;   in Loop: Header=BB7_28 Depth=1
	v_readfirstlane_b32 s0, v25
	v_mov_b64_e32 v[28:29], 0
	s_nop 0
	v_cmp_eq_u32_e64 s[0:1], s0, v25
	s_and_saveexec_b64 s[12:13], s[0:1]
	s_cbranch_execz .LBB7_90
; %bb.85:                               ;   in Loop: Header=BB7_28 Depth=1
	global_load_dwordx2 v[20:21], v27, s[2:3] offset:24 sc0 sc1
	s_waitcnt vmcnt(0)
	buffer_inv sc0 sc1
	global_load_dwordx2 v[18:19], v27, s[2:3] offset:40
	global_load_dwordx2 v[28:29], v27, s[2:3]
	s_waitcnt vmcnt(1)
	v_and_b32_e32 v18, v18, v20
	v_and_b32_e32 v19, v19, v21
	v_mul_lo_u32 v19, v19, 24
	v_mul_hi_u32 v23, v18, 24
	v_add_u32_e32 v19, v23, v19
	v_mul_lo_u32 v18, v18, 24
	s_waitcnt vmcnt(0)
	v_lshl_add_u64 v[18:19], v[28:29], 0, v[18:19]
	global_load_dwordx2 v[18:19], v[18:19], off sc0 sc1
	s_waitcnt vmcnt(0)
	global_atomic_cmpswap_x2 v[28:29], v27, v[18:21], s[2:3] offset:24 sc0 sc1
	s_waitcnt vmcnt(0)
	buffer_inv sc0 sc1
	v_cmp_ne_u64_e32 vcc, v[28:29], v[20:21]
	s_and_saveexec_b64 s[14:15], vcc
	s_cbranch_execz .LBB7_89
; %bb.86:                               ;   in Loop: Header=BB7_28 Depth=1
	s_mov_b64 s[16:17], 0
.LBB7_87:                               ;   Parent Loop BB7_28 Depth=1
                                        ; =>  This Inner Loop Header: Depth=2
	s_sleep 1
	global_load_dwordx2 v[18:19], v27, s[2:3] offset:40
	global_load_dwordx2 v[30:31], v27, s[2:3]
	v_mov_b64_e32 v[20:21], v[28:29]
	s_waitcnt vmcnt(1)
	v_and_b32_e32 v18, v18, v20
	v_and_b32_e32 v23, v19, v21
	s_waitcnt vmcnt(0)
	v_mad_u64_u32 v[18:19], s[18:19], v18, 24, v[30:31]
	v_mov_b32_e32 v26, v19
	v_mad_u64_u32 v[28:29], s[18:19], v23, 24, v[26:27]
	v_mov_b32_e32 v19, v28
	global_load_dwordx2 v[18:19], v[18:19], off sc0 sc1
	s_waitcnt vmcnt(0)
	global_atomic_cmpswap_x2 v[28:29], v27, v[18:21], s[2:3] offset:24 sc0 sc1
	s_waitcnt vmcnt(0)
	buffer_inv sc0 sc1
	v_cmp_eq_u64_e32 vcc, v[28:29], v[20:21]
	s_or_b64 s[16:17], vcc, s[16:17]
	s_andn2_b64 exec, exec, s[16:17]
	s_cbranch_execnz .LBB7_87
; %bb.88:                               ;   in Loop: Header=BB7_28 Depth=1
	s_or_b64 exec, exec, s[16:17]
.LBB7_89:                               ;   in Loop: Header=BB7_28 Depth=1
	s_or_b64 exec, exec, s[14:15]
.LBB7_90:                               ;   in Loop: Header=BB7_28 Depth=1
	s_or_b64 exec, exec, s[12:13]
	global_load_dwordx2 v[30:31], v27, s[2:3] offset:40
	global_load_dwordx4 v[18:21], v27, s[2:3]
	v_readfirstlane_b32 s13, v29
	v_readfirstlane_b32 s12, v28
	s_mov_b64 s[14:15], exec
	s_waitcnt vmcnt(1)
	v_readfirstlane_b32 s16, v30
	v_readfirstlane_b32 s17, v31
	s_and_b64 s[16:17], s[16:17], s[12:13]
	s_mul_i32 s18, s17, 24
	s_mul_hi_u32 s19, s16, 24
	s_add_i32 s19, s19, s18
	s_mul_i32 s18, s16, 24
	s_waitcnt vmcnt(0)
	v_lshl_add_u64 v[28:29], v[18:19], 0, s[18:19]
	s_and_saveexec_b64 s[18:19], s[0:1]
	s_cbranch_execz .LBB7_92
; %bb.91:                               ;   in Loop: Header=BB7_28 Depth=1
	v_mov_b64_e32 v[30:31], s[14:15]
	global_store_dwordx4 v[28:29], v[30:33], off offset:8
.LBB7_92:                               ;   in Loop: Header=BB7_28 Depth=1
	s_or_b64 exec, exec, s[18:19]
	s_lshl_b64 s[14:15], s[16:17], 12
	v_lshl_add_u64 v[20:21], v[20:21], 0, s[14:15]
	v_cmp_lt_u64_e64 vcc, s[6:7], 57
	s_lshl_b32 s14, s10, 2
	s_add_i32 s14, s14, 28
	v_cndmask_b32_e32 v23, 0, v24, vcc
	v_and_b32_e32 v0, 0xffffff1f, v0
	s_and_b32 s14, s14, 0x1e0
	v_or_b32_e32 v0, v0, v23
	v_or_b32_e32 v0, s14, v0
	v_readfirstlane_b32 s14, v20
	v_readfirstlane_b32 s15, v21
	s_nop 4
	global_store_dwordx4 v22, v[0:3], s[14:15]
	global_store_dwordx4 v22, v[6:9], s[14:15] offset:16
	global_store_dwordx4 v22, v[10:13], s[14:15] offset:32
	;; [unrolled: 1-line block ×3, first 2 shown]
	s_and_saveexec_b64 s[14:15], s[0:1]
	s_cbranch_execz .LBB7_100
; %bb.93:                               ;   in Loop: Header=BB7_28 Depth=1
	global_load_dwordx2 v[10:11], v27, s[2:3] offset:32 sc0 sc1
	global_load_dwordx2 v[0:1], v27, s[2:3] offset:40
	v_mov_b32_e32 v8, s12
	v_mov_b32_e32 v9, s13
	s_waitcnt vmcnt(0)
	v_readfirstlane_b32 s16, v0
	v_readfirstlane_b32 s17, v1
	s_and_b64 s[16:17], s[16:17], s[12:13]
	s_mul_i32 s17, s17, 24
	s_mul_hi_u32 s18, s16, 24
	s_mul_i32 s16, s16, 24
	s_add_i32 s17, s18, s17
	v_lshl_add_u64 v[6:7], v[18:19], 0, s[16:17]
	global_store_dwordx2 v[6:7], v[10:11], off
	buffer_wbl2 sc0 sc1
	s_waitcnt vmcnt(0)
	global_atomic_cmpswap_x2 v[2:3], v27, v[8:11], s[2:3] offset:32 sc0 sc1
	s_waitcnt vmcnt(0)
	v_cmp_ne_u64_e32 vcc, v[2:3], v[10:11]
	s_and_saveexec_b64 s[16:17], vcc
	s_cbranch_execz .LBB7_96
; %bb.94:                               ;   in Loop: Header=BB7_28 Depth=1
	s_mov_b64 s[18:19], 0
.LBB7_95:                               ;   Parent Loop BB7_28 Depth=1
                                        ; =>  This Inner Loop Header: Depth=2
	s_sleep 1
	global_store_dwordx2 v[6:7], v[2:3], off
	v_mov_b32_e32 v0, s12
	v_mov_b32_e32 v1, s13
	buffer_wbl2 sc0 sc1
	s_waitcnt vmcnt(0)
	global_atomic_cmpswap_x2 v[0:1], v27, v[0:3], s[2:3] offset:32 sc0 sc1
	s_waitcnt vmcnt(0)
	v_cmp_eq_u64_e32 vcc, v[0:1], v[2:3]
	s_or_b64 s[18:19], vcc, s[18:19]
	v_mov_b64_e32 v[2:3], v[0:1]
	s_andn2_b64 exec, exec, s[18:19]
	s_cbranch_execnz .LBB7_95
.LBB7_96:                               ;   in Loop: Header=BB7_28 Depth=1
	s_or_b64 exec, exec, s[16:17]
	global_load_dwordx2 v[0:1], v27, s[2:3] offset:16
	s_mov_b64 s[18:19], exec
	v_mbcnt_lo_u32_b32 v2, s18, 0
	v_mbcnt_hi_u32_b32 v2, s19, v2
	v_cmp_eq_u32_e32 vcc, 0, v2
	s_and_saveexec_b64 s[16:17], vcc
	s_cbranch_execz .LBB7_98
; %bb.97:                               ;   in Loop: Header=BB7_28 Depth=1
	s_bcnt1_i32_b64 s18, s[18:19]
	v_mov_b32_e32 v26, s18
	buffer_wbl2 sc0 sc1
	s_waitcnt vmcnt(0)
	global_atomic_add_x2 v[0:1], v[26:27], off offset:8 sc1
.LBB7_98:                               ;   in Loop: Header=BB7_28 Depth=1
	s_or_b64 exec, exec, s[16:17]
	s_waitcnt vmcnt(0)
	global_load_dwordx2 v[2:3], v[0:1], off offset:16
	s_waitcnt vmcnt(0)
	v_cmp_eq_u64_e32 vcc, 0, v[2:3]
	s_cbranch_vccnz .LBB7_100
; %bb.99:                               ;   in Loop: Header=BB7_28 Depth=1
	global_load_dword v26, v[0:1], off offset:24
	s_waitcnt vmcnt(0)
	v_readfirstlane_b32 s16, v26
	s_and_b32 m0, s16, 0xffffff
	buffer_wbl2 sc0 sc1
	global_store_dwordx2 v[2:3], v[26:27], off sc0 sc1
	s_sendmsg sendmsg(MSG_INTERRUPT)
.LBB7_100:                              ;   in Loop: Header=BB7_28 Depth=1
	s_or_b64 exec, exec, s[14:15]
	v_mov_b32_e32 v23, v27
	v_lshl_add_u64 v[0:1], v[20:21], 0, v[22:23]
	s_branch .LBB7_104
.LBB7_101:                              ;   in Loop: Header=BB7_104 Depth=2
	s_or_b64 exec, exec, s[14:15]
	v_readfirstlane_b32 s14, v2
	s_cmp_eq_u32 s14, 0
	s_cbranch_scc1 .LBB7_103
; %bb.102:                              ;   in Loop: Header=BB7_104 Depth=2
	s_sleep 1
	s_cbranch_execnz .LBB7_104
	s_branch .LBB7_106
.LBB7_103:                              ;   in Loop: Header=BB7_28 Depth=1
	s_branch .LBB7_106
.LBB7_104:                              ;   Parent Loop BB7_28 Depth=1
                                        ; =>  This Inner Loop Header: Depth=2
	v_mov_b32_e32 v2, 1
	s_and_saveexec_b64 s[14:15], s[0:1]
	s_cbranch_execz .LBB7_101
; %bb.105:                              ;   in Loop: Header=BB7_104 Depth=2
	global_load_dword v2, v[28:29], off offset:20 sc0 sc1
	s_waitcnt vmcnt(0)
	buffer_inv sc0 sc1
	v_and_b32_e32 v2, 1, v2
	s_branch .LBB7_101
.LBB7_106:                              ;   in Loop: Header=BB7_28 Depth=1
	global_load_dwordx2 v[0:1], v[0:1], off
	s_and_saveexec_b64 s[14:15], s[0:1]
	s_cbranch_execz .LBB7_27
; %bb.107:                              ;   in Loop: Header=BB7_28 Depth=1
	global_load_dwordx2 v[2:3], v27, s[2:3] offset:40
	global_load_dwordx2 v[10:11], v27, s[2:3] offset:24 sc0 sc1
	global_load_dwordx2 v[6:7], v27, s[2:3]
	s_waitcnt vmcnt(2)
	v_readfirstlane_b32 s16, v2
	v_readfirstlane_b32 s17, v3
	s_add_u32 s18, s16, 1
	s_addc_u32 s19, s17, 0
	s_add_u32 s0, s18, s12
	s_addc_u32 s1, s19, s13
	s_cmp_eq_u64 s[0:1], 0
	s_cselect_b32 s1, s19, s1
	s_cselect_b32 s0, s18, s0
	s_and_b64 s[12:13], s[0:1], s[16:17]
	s_mul_i32 s13, s13, 24
	s_mul_hi_u32 s16, s12, 24
	s_mul_i32 s12, s12, 24
	s_add_i32 s13, s16, s13
	s_waitcnt vmcnt(0)
	v_lshl_add_u64 v[2:3], v[6:7], 0, s[12:13]
	v_mov_b32_e32 v8, s0
	global_store_dwordx2 v[2:3], v[10:11], off
	v_mov_b32_e32 v9, s1
	buffer_wbl2 sc0 sc1
	s_waitcnt vmcnt(0)
	global_atomic_cmpswap_x2 v[8:9], v27, v[8:11], s[2:3] offset:24 sc0 sc1
	s_waitcnt vmcnt(0)
	v_cmp_ne_u64_e32 vcc, v[8:9], v[10:11]
	s_and_b64 exec, exec, vcc
	s_cbranch_execz .LBB7_27
; %bb.108:                              ;   in Loop: Header=BB7_28 Depth=1
	s_mov_b64 s[12:13], 0
.LBB7_109:                              ;   Parent Loop BB7_28 Depth=1
                                        ; =>  This Inner Loop Header: Depth=2
	s_sleep 1
	global_store_dwordx2 v[2:3], v[8:9], off
	v_mov_b32_e32 v6, s0
	v_mov_b32_e32 v7, s1
	buffer_wbl2 sc0 sc1
	s_waitcnt vmcnt(0)
	global_atomic_cmpswap_x2 v[6:7], v27, v[6:9], s[2:3] offset:24 sc0 sc1
	s_waitcnt vmcnt(0)
	v_cmp_eq_u64_e32 vcc, v[6:7], v[8:9]
	s_or_b64 s[12:13], vcc, s[12:13]
	v_mov_b64_e32 v[8:9], v[6:7]
	s_andn2_b64 exec, exec, s[12:13]
	s_cbranch_execnz .LBB7_109
	s_branch .LBB7_27
.LBB7_110:
                                        ; implicit-def: $vgpr0_vgpr1
	s_cbranch_execnz .LBB7_112
	s_branch .LBB7_138
.LBB7_111:
	s_branch .LBB7_138
.LBB7_112:
	v_readfirstlane_b32 s0, v25
	v_mov_b64_e32 v[6:7], 0
	s_nop 0
	v_cmp_eq_u32_e64 s[0:1], s0, v25
	s_and_saveexec_b64 s[4:5], s[0:1]
	s_cbranch_execz .LBB7_118
; %bb.113:
	s_waitcnt vmcnt(0)
	v_mov_b32_e32 v0, 0
	global_load_dwordx2 v[8:9], v0, s[2:3] offset:24 sc0 sc1
	s_waitcnt vmcnt(0)
	buffer_inv sc0 sc1
	global_load_dwordx2 v[2:3], v0, s[2:3] offset:40
	global_load_dwordx2 v[6:7], v0, s[2:3]
	s_waitcnt vmcnt(1)
	v_and_b32_e32 v1, v2, v8
	v_and_b32_e32 v2, v3, v9
	v_mul_lo_u32 v2, v2, 24
	v_mul_hi_u32 v3, v1, 24
	v_add_u32_e32 v3, v3, v2
	v_mul_lo_u32 v2, v1, 24
	s_waitcnt vmcnt(0)
	v_lshl_add_u64 v[2:3], v[6:7], 0, v[2:3]
	global_load_dwordx2 v[6:7], v[2:3], off sc0 sc1
	s_waitcnt vmcnt(0)
	global_atomic_cmpswap_x2 v[6:7], v0, v[6:9], s[2:3] offset:24 sc0 sc1
	s_waitcnt vmcnt(0)
	buffer_inv sc0 sc1
	v_cmp_ne_u64_e32 vcc, v[6:7], v[8:9]
	s_and_saveexec_b64 s[6:7], vcc
	s_cbranch_execz .LBB7_117
; %bb.114:
	s_mov_b64 s[10:11], 0
.LBB7_115:                              ; =>This Inner Loop Header: Depth=1
	s_sleep 1
	global_load_dwordx2 v[2:3], v0, s[2:3] offset:40
	global_load_dwordx2 v[10:11], v0, s[2:3]
	v_mov_b64_e32 v[8:9], v[6:7]
	s_waitcnt vmcnt(1)
	v_and_b32_e32 v2, v2, v8
	v_and_b32_e32 v1, v3, v9
	s_waitcnt vmcnt(0)
	v_mad_u64_u32 v[2:3], s[12:13], v2, 24, v[10:11]
	v_mov_b32_e32 v6, v3
	v_mad_u64_u32 v[6:7], s[12:13], v1, 24, v[6:7]
	v_mov_b32_e32 v3, v6
	global_load_dwordx2 v[6:7], v[2:3], off sc0 sc1
	s_waitcnt vmcnt(0)
	global_atomic_cmpswap_x2 v[6:7], v0, v[6:9], s[2:3] offset:24 sc0 sc1
	s_waitcnt vmcnt(0)
	buffer_inv sc0 sc1
	v_cmp_eq_u64_e32 vcc, v[6:7], v[8:9]
	s_or_b64 s[10:11], vcc, s[10:11]
	s_andn2_b64 exec, exec, s[10:11]
	s_cbranch_execnz .LBB7_115
; %bb.116:
	s_or_b64 exec, exec, s[10:11]
.LBB7_117:
	s_or_b64 exec, exec, s[6:7]
.LBB7_118:
	s_or_b64 exec, exec, s[4:5]
	v_mov_b32_e32 v23, 0
	global_load_dwordx2 v[8:9], v23, s[2:3] offset:40
	global_load_dwordx4 v[0:3], v23, s[2:3]
	v_readfirstlane_b32 s5, v7
	v_readfirstlane_b32 s4, v6
	s_mov_b64 s[6:7], exec
	s_waitcnt vmcnt(1)
	v_readfirstlane_b32 s10, v8
	v_readfirstlane_b32 s11, v9
	s_and_b64 s[10:11], s[10:11], s[4:5]
	s_mul_i32 s12, s11, 24
	s_mul_hi_u32 s13, s10, 24
	s_add_i32 s13, s13, s12
	s_mul_i32 s12, s10, 24
	s_waitcnt vmcnt(0)
	v_lshl_add_u64 v[8:9], v[0:1], 0, s[12:13]
	s_and_saveexec_b64 s[12:13], s[0:1]
	s_cbranch_execz .LBB7_120
; %bb.119:
	v_mov_b64_e32 v[10:11], s[6:7]
	v_mov_b32_e32 v12, 2
	v_mov_b32_e32 v13, 1
	global_store_dwordx4 v[8:9], v[10:13], off offset:8
.LBB7_120:
	s_or_b64 exec, exec, s[12:13]
	s_lshl_b64 s[6:7], s[10:11], 12
	v_lshl_add_u64 v[10:11], v[2:3], 0, s[6:7]
	s_movk_i32 s6, 0xff1f
	s_mov_b32 s12, 0
	v_and_or_b32 v4, v4, s6, 32
	v_mov_b32_e32 v6, v23
	v_mov_b32_e32 v7, v23
	v_readfirstlane_b32 s6, v10
	v_readfirstlane_b32 s7, v11
	s_mov_b32 s13, s12
	s_mov_b32 s14, s12
	;; [unrolled: 1-line block ×3, first 2 shown]
	s_nop 1
	global_store_dwordx4 v22, v[4:7], s[6:7]
	v_mov_b64_e32 v[2:3], s[12:13]
	s_nop 0
	v_mov_b64_e32 v[4:5], s[14:15]
	global_store_dwordx4 v22, v[2:5], s[6:7] offset:16
	global_store_dwordx4 v22, v[2:5], s[6:7] offset:32
	global_store_dwordx4 v22, v[2:5], s[6:7] offset:48
	s_and_saveexec_b64 s[6:7], s[0:1]
	s_cbranch_execz .LBB7_128
; %bb.121:
	v_mov_b32_e32 v6, 0
	global_load_dwordx2 v[14:15], v6, s[2:3] offset:32 sc0 sc1
	global_load_dwordx2 v[2:3], v6, s[2:3] offset:40
	v_mov_b32_e32 v12, s4
	v_mov_b32_e32 v13, s5
	s_waitcnt vmcnt(0)
	v_readfirstlane_b32 s10, v2
	v_readfirstlane_b32 s11, v3
	s_and_b64 s[10:11], s[10:11], s[4:5]
	s_mul_i32 s11, s11, 24
	s_mul_hi_u32 s12, s10, 24
	s_mul_i32 s10, s10, 24
	s_add_i32 s11, s12, s11
	v_lshl_add_u64 v[4:5], v[0:1], 0, s[10:11]
	global_store_dwordx2 v[4:5], v[14:15], off
	buffer_wbl2 sc0 sc1
	s_waitcnt vmcnt(0)
	global_atomic_cmpswap_x2 v[2:3], v6, v[12:15], s[2:3] offset:32 sc0 sc1
	s_waitcnt vmcnt(0)
	v_cmp_ne_u64_e32 vcc, v[2:3], v[14:15]
	s_and_saveexec_b64 s[10:11], vcc
	s_cbranch_execz .LBB7_124
; %bb.122:
	s_mov_b64 s[12:13], 0
.LBB7_123:                              ; =>This Inner Loop Header: Depth=1
	s_sleep 1
	global_store_dwordx2 v[4:5], v[2:3], off
	v_mov_b32_e32 v0, s4
	v_mov_b32_e32 v1, s5
	buffer_wbl2 sc0 sc1
	s_waitcnt vmcnt(0)
	global_atomic_cmpswap_x2 v[0:1], v6, v[0:3], s[2:3] offset:32 sc0 sc1
	s_waitcnt vmcnt(0)
	v_cmp_eq_u64_e32 vcc, v[0:1], v[2:3]
	s_or_b64 s[12:13], vcc, s[12:13]
	v_mov_b64_e32 v[2:3], v[0:1]
	s_andn2_b64 exec, exec, s[12:13]
	s_cbranch_execnz .LBB7_123
.LBB7_124:
	s_or_b64 exec, exec, s[10:11]
	v_mov_b32_e32 v3, 0
	global_load_dwordx2 v[0:1], v3, s[2:3] offset:16
	s_mov_b64 s[10:11], exec
	v_mbcnt_lo_u32_b32 v2, s10, 0
	v_mbcnt_hi_u32_b32 v2, s11, v2
	v_cmp_eq_u32_e32 vcc, 0, v2
	s_and_saveexec_b64 s[12:13], vcc
	s_cbranch_execz .LBB7_126
; %bb.125:
	s_bcnt1_i32_b64 s10, s[10:11]
	v_mov_b32_e32 v2, s10
	buffer_wbl2 sc0 sc1
	s_waitcnt vmcnt(0)
	global_atomic_add_x2 v[0:1], v[2:3], off offset:8 sc1
.LBB7_126:
	s_or_b64 exec, exec, s[12:13]
	s_waitcnt vmcnt(0)
	global_load_dwordx2 v[2:3], v[0:1], off offset:16
	s_waitcnt vmcnt(0)
	v_cmp_eq_u64_e32 vcc, 0, v[2:3]
	s_cbranch_vccnz .LBB7_128
; %bb.127:
	global_load_dword v0, v[0:1], off offset:24
	v_mov_b32_e32 v1, 0
	s_waitcnt vmcnt(0)
	v_readfirstlane_b32 s10, v0
	s_and_b32 m0, s10, 0xffffff
	buffer_wbl2 sc0 sc1
	global_store_dwordx2 v[2:3], v[0:1], off sc0 sc1
	s_sendmsg sendmsg(MSG_INTERRUPT)
.LBB7_128:
	s_or_b64 exec, exec, s[6:7]
	v_lshl_add_u64 v[0:1], v[10:11], 0, v[22:23]
	s_branch .LBB7_132
.LBB7_129:                              ;   in Loop: Header=BB7_132 Depth=1
	s_or_b64 exec, exec, s[6:7]
	v_readfirstlane_b32 s6, v2
	s_cmp_eq_u32 s6, 0
	s_cbranch_scc1 .LBB7_131
; %bb.130:                              ;   in Loop: Header=BB7_132 Depth=1
	s_sleep 1
	s_cbranch_execnz .LBB7_132
	s_branch .LBB7_134
.LBB7_131:
	s_branch .LBB7_134
.LBB7_132:                              ; =>This Inner Loop Header: Depth=1
	v_mov_b32_e32 v2, 1
	s_and_saveexec_b64 s[6:7], s[0:1]
	s_cbranch_execz .LBB7_129
; %bb.133:                              ;   in Loop: Header=BB7_132 Depth=1
	global_load_dword v2, v[8:9], off offset:20 sc0 sc1
	s_waitcnt vmcnt(0)
	buffer_inv sc0 sc1
	v_and_b32_e32 v2, 1, v2
	s_branch .LBB7_129
.LBB7_134:
	global_load_dwordx2 v[0:1], v[0:1], off
	s_and_saveexec_b64 s[6:7], s[0:1]
	s_cbranch_execz .LBB7_137
; %bb.135:
	v_mov_b32_e32 v8, 0
	global_load_dwordx2 v[2:3], v8, s[2:3] offset:40
	global_load_dwordx2 v[12:13], v8, s[2:3] offset:24 sc0 sc1
	global_load_dwordx2 v[4:5], v8, s[2:3]
	s_waitcnt vmcnt(2)
	v_readfirstlane_b32 s10, v2
	v_readfirstlane_b32 s11, v3
	s_add_u32 s12, s10, 1
	s_addc_u32 s13, s11, 0
	s_add_u32 s0, s12, s4
	s_addc_u32 s1, s13, s5
	s_cmp_eq_u64 s[0:1], 0
	s_cselect_b32 s1, s13, s1
	s_cselect_b32 s0, s12, s0
	s_and_b64 s[4:5], s[0:1], s[10:11]
	s_mul_i32 s5, s5, 24
	s_mul_hi_u32 s10, s4, 24
	s_mul_i32 s4, s4, 24
	s_add_i32 s5, s10, s5
	s_waitcnt vmcnt(0)
	v_lshl_add_u64 v[6:7], v[4:5], 0, s[4:5]
	v_mov_b32_e32 v10, s0
	global_store_dwordx2 v[6:7], v[12:13], off
	v_mov_b32_e32 v11, s1
	buffer_wbl2 sc0 sc1
	s_waitcnt vmcnt(0)
	global_atomic_cmpswap_x2 v[4:5], v8, v[10:13], s[2:3] offset:24 sc0 sc1
	s_mov_b64 s[4:5], 0
	s_waitcnt vmcnt(0)
	v_cmp_ne_u64_e32 vcc, v[4:5], v[12:13]
	s_and_b64 exec, exec, vcc
	s_cbranch_execz .LBB7_137
.LBB7_136:                              ; =>This Inner Loop Header: Depth=1
	s_sleep 1
	global_store_dwordx2 v[6:7], v[4:5], off
	v_mov_b32_e32 v2, s0
	v_mov_b32_e32 v3, s1
	buffer_wbl2 sc0 sc1
	s_waitcnt vmcnt(0)
	global_atomic_cmpswap_x2 v[2:3], v8, v[2:5], s[2:3] offset:24 sc0 sc1
	s_waitcnt vmcnt(0)
	v_cmp_eq_u64_e32 vcc, v[2:3], v[4:5]
	s_or_b64 s[4:5], vcc, s[4:5]
	v_mov_b64_e32 v[4:5], v[2:3]
	s_andn2_b64 exec, exec, s[4:5]
	s_cbranch_execnz .LBB7_136
.LBB7_137:
	s_or_b64 exec, exec, s[6:7]
.LBB7_138:
	s_getpc_b64 s[4:5]
	s_add_u32 s4, s4, .str.3@rel32@lo+4
	s_addc_u32 s5, s5, .str.3@rel32@hi+12
	s_cmp_lg_u64 s[4:5], 0
	s_cselect_b64 s[0:1], -1, 0
	s_cmp_eq_u64 s[4:5], 0
	s_mov_b64 s[4:5], 0
	s_cbranch_scc1 .LBB7_142
; %bb.139:
	v_mov_b32_e32 v2, 0
	s_getpc_b64 s[4:5]
	s_add_u32 s4, s4, .str.3@rel32@lo+3
	s_addc_u32 s5, s5, .str.3@rel32@hi+11
.LBB7_140:                              ; =>This Inner Loop Header: Depth=1
	global_load_ubyte v3, v2, s[4:5] offset:1
	s_add_u32 s6, s4, 1
	s_addc_u32 s7, s5, 0
	s_mov_b64 s[4:5], s[6:7]
	s_waitcnt vmcnt(0)
	v_cmp_ne_u32_e32 vcc, 0, v3
	s_cbranch_vccnz .LBB7_140
; %bb.141:
	s_getpc_b64 s[4:5]
	s_add_u32 s4, s4, .str.3@rel32@lo+4
	s_addc_u32 s5, s5, .str.3@rel32@hi+12
	s_sub_u32 s4, s6, s4
	s_subb_u32 s5, s7, s5
	s_add_u32 s4, s4, 1
	s_addc_u32 s5, s5, 0
.LBB7_142:
	s_and_b64 vcc, exec, s[0:1]
	s_cbranch_vccz .LBB7_227
; %bb.143:
	s_waitcnt vmcnt(0)
	v_and_b32_e32 v24, 2, v0
	v_mov_b32_e32 v27, 0
	v_and_b32_e32 v2, -3, v0
	v_mov_b32_e32 v3, v1
	v_mov_b32_e32 v32, 2
	;; [unrolled: 1-line block ×3, first 2 shown]
	s_getpc_b64 s[6:7]
	s_add_u32 s6, s6, .str.3@rel32@lo+4
	s_addc_u32 s7, s7, .str.3@rel32@hi+12
	s_branch .LBB7_145
.LBB7_144:                              ;   in Loop: Header=BB7_145 Depth=1
	s_or_b64 exec, exec, s[14:15]
	s_sub_u32 s4, s4, s10
	s_subb_u32 s5, s5, s11
	s_add_u32 s6, s6, s10
	s_addc_u32 s7, s7, s11
	s_cmp_lg_u64 s[4:5], 0
	s_cbranch_scc0 .LBB7_228
.LBB7_145:                              ; =>This Loop Header: Depth=1
                                        ;     Child Loop BB7_148 Depth 2
                                        ;     Child Loop BB7_156 Depth 2
	;; [unrolled: 1-line block ×11, first 2 shown]
	v_cmp_lt_u64_e64 s[0:1], s[4:5], 56
	s_and_b64 s[0:1], s[0:1], exec
	s_cselect_b32 s11, s5, 0
	s_cselect_b32 s10, s4, 56
	v_cmp_gt_u64_e64 s[12:13], s[4:5], 7
	s_add_u32 s0, s6, 8
	s_addc_u32 s1, s7, 0
	s_and_b64 vcc, exec, s[12:13]
	s_cbranch_vccnz .LBB7_149
; %bb.146:                              ;   in Loop: Header=BB7_145 Depth=1
	s_cmp_eq_u64 s[4:5], 0
	s_cbranch_scc1 .LBB7_150
; %bb.147:                              ;   in Loop: Header=BB7_145 Depth=1
	s_lshl_b64 s[0:1], s[10:11], 3
	s_mov_b64 s[12:13], 0
	v_mov_b64_e32 v[4:5], 0
	s_mov_b64 s[14:15], s[6:7]
.LBB7_148:                              ;   Parent Loop BB7_145 Depth=1
                                        ; =>  This Inner Loop Header: Depth=2
	global_load_ubyte v6, v27, s[14:15]
	s_waitcnt vmcnt(0)
	v_and_b32_e32 v26, 0xffff, v6
	v_lshlrev_b64 v[6:7], s12, v[26:27]
	s_add_u32 s12, s12, 8
	s_addc_u32 s13, s13, 0
	s_add_u32 s14, s14, 1
	s_addc_u32 s15, s15, 0
	v_or_b32_e32 v4, v6, v4
	s_cmp_lg_u32 s0, s12
	v_or_b32_e32 v5, v7, v5
	s_cbranch_scc1 .LBB7_148
	s_branch .LBB7_151
.LBB7_149:                              ;   in Loop: Header=BB7_145 Depth=1
	s_mov_b32 s16, 0
	s_branch .LBB7_152
.LBB7_150:                              ;   in Loop: Header=BB7_145 Depth=1
	v_mov_b64_e32 v[4:5], 0
.LBB7_151:                              ;   in Loop: Header=BB7_145 Depth=1
	s_mov_b64 s[0:1], s[6:7]
	s_mov_b32 s16, 0
	s_cbranch_execnz .LBB7_153
.LBB7_152:                              ;   in Loop: Header=BB7_145 Depth=1
	global_load_dwordx2 v[4:5], v27, s[6:7]
	s_add_i32 s16, s10, -8
.LBB7_153:                              ;   in Loop: Header=BB7_145 Depth=1
	s_add_u32 s12, s0, 8
	s_addc_u32 s13, s1, 0
	s_cmp_gt_u32 s16, 7
	s_cbranch_scc1 .LBB7_157
; %bb.154:                              ;   in Loop: Header=BB7_145 Depth=1
	s_cmp_eq_u32 s16, 0
	s_cbranch_scc1 .LBB7_158
; %bb.155:                              ;   in Loop: Header=BB7_145 Depth=1
	s_mov_b64 s[12:13], 0
	v_mov_b64_e32 v[6:7], 0
	s_mov_b64 s[14:15], 0
.LBB7_156:                              ;   Parent Loop BB7_145 Depth=1
                                        ; =>  This Inner Loop Header: Depth=2
	s_add_u32 s18, s0, s14
	s_addc_u32 s19, s1, s15
	global_load_ubyte v8, v27, s[18:19]
	s_add_u32 s14, s14, 1
	s_addc_u32 s15, s15, 0
	s_waitcnt vmcnt(0)
	v_and_b32_e32 v26, 0xffff, v8
	v_lshlrev_b64 v[8:9], s12, v[26:27]
	s_add_u32 s12, s12, 8
	s_addc_u32 s13, s13, 0
	v_or_b32_e32 v6, v8, v6
	s_cmp_lg_u32 s16, s14
	v_or_b32_e32 v7, v9, v7
	s_cbranch_scc1 .LBB7_156
	s_branch .LBB7_159
.LBB7_157:                              ;   in Loop: Header=BB7_145 Depth=1
                                        ; implicit-def: $vgpr6_vgpr7
	s_mov_b32 s17, 0
	s_branch .LBB7_160
.LBB7_158:                              ;   in Loop: Header=BB7_145 Depth=1
	v_mov_b64_e32 v[6:7], 0
.LBB7_159:                              ;   in Loop: Header=BB7_145 Depth=1
	s_mov_b64 s[12:13], s[0:1]
	s_mov_b32 s17, 0
	s_cbranch_execnz .LBB7_161
.LBB7_160:                              ;   in Loop: Header=BB7_145 Depth=1
	global_load_dwordx2 v[6:7], v27, s[0:1]
	s_add_i32 s17, s16, -8
.LBB7_161:                              ;   in Loop: Header=BB7_145 Depth=1
	s_add_u32 s0, s12, 8
	s_addc_u32 s1, s13, 0
	s_cmp_gt_u32 s17, 7
	s_cbranch_scc1 .LBB7_165
; %bb.162:                              ;   in Loop: Header=BB7_145 Depth=1
	s_cmp_eq_u32 s17, 0
	s_cbranch_scc1 .LBB7_166
; %bb.163:                              ;   in Loop: Header=BB7_145 Depth=1
	s_mov_b64 s[0:1], 0
	v_mov_b64_e32 v[8:9], 0
	s_mov_b64 s[14:15], 0
.LBB7_164:                              ;   Parent Loop BB7_145 Depth=1
                                        ; =>  This Inner Loop Header: Depth=2
	s_add_u32 s18, s12, s14
	s_addc_u32 s19, s13, s15
	global_load_ubyte v10, v27, s[18:19]
	s_add_u32 s14, s14, 1
	s_addc_u32 s15, s15, 0
	s_waitcnt vmcnt(0)
	v_and_b32_e32 v26, 0xffff, v10
	v_lshlrev_b64 v[10:11], s0, v[26:27]
	s_add_u32 s0, s0, 8
	s_addc_u32 s1, s1, 0
	v_or_b32_e32 v8, v10, v8
	s_cmp_lg_u32 s17, s14
	v_or_b32_e32 v9, v11, v9
	s_cbranch_scc1 .LBB7_164
	s_branch .LBB7_167
.LBB7_165:                              ;   in Loop: Header=BB7_145 Depth=1
	s_mov_b32 s16, 0
	s_branch .LBB7_168
.LBB7_166:                              ;   in Loop: Header=BB7_145 Depth=1
	v_mov_b64_e32 v[8:9], 0
.LBB7_167:                              ;   in Loop: Header=BB7_145 Depth=1
	s_mov_b64 s[0:1], s[12:13]
	s_mov_b32 s16, 0
	s_cbranch_execnz .LBB7_169
.LBB7_168:                              ;   in Loop: Header=BB7_145 Depth=1
	global_load_dwordx2 v[8:9], v27, s[12:13]
	s_add_i32 s16, s17, -8
.LBB7_169:                              ;   in Loop: Header=BB7_145 Depth=1
	s_add_u32 s12, s0, 8
	s_addc_u32 s13, s1, 0
	s_cmp_gt_u32 s16, 7
	s_cbranch_scc1 .LBB7_173
; %bb.170:                              ;   in Loop: Header=BB7_145 Depth=1
	s_cmp_eq_u32 s16, 0
	s_cbranch_scc1 .LBB7_174
; %bb.171:                              ;   in Loop: Header=BB7_145 Depth=1
	s_mov_b64 s[12:13], 0
	v_mov_b64_e32 v[10:11], 0
	s_mov_b64 s[14:15], 0
.LBB7_172:                              ;   Parent Loop BB7_145 Depth=1
                                        ; =>  This Inner Loop Header: Depth=2
	s_add_u32 s18, s0, s14
	s_addc_u32 s19, s1, s15
	global_load_ubyte v12, v27, s[18:19]
	s_add_u32 s14, s14, 1
	s_addc_u32 s15, s15, 0
	s_waitcnt vmcnt(0)
	v_and_b32_e32 v26, 0xffff, v12
	v_lshlrev_b64 v[12:13], s12, v[26:27]
	s_add_u32 s12, s12, 8
	s_addc_u32 s13, s13, 0
	v_or_b32_e32 v10, v12, v10
	s_cmp_lg_u32 s16, s14
	v_or_b32_e32 v11, v13, v11
	s_cbranch_scc1 .LBB7_172
	s_branch .LBB7_175
.LBB7_173:                              ;   in Loop: Header=BB7_145 Depth=1
                                        ; implicit-def: $vgpr10_vgpr11
	s_mov_b32 s17, 0
	s_branch .LBB7_176
.LBB7_174:                              ;   in Loop: Header=BB7_145 Depth=1
	v_mov_b64_e32 v[10:11], 0
.LBB7_175:                              ;   in Loop: Header=BB7_145 Depth=1
	s_mov_b64 s[12:13], s[0:1]
	s_mov_b32 s17, 0
	s_cbranch_execnz .LBB7_177
.LBB7_176:                              ;   in Loop: Header=BB7_145 Depth=1
	global_load_dwordx2 v[10:11], v27, s[0:1]
	s_add_i32 s17, s16, -8
.LBB7_177:                              ;   in Loop: Header=BB7_145 Depth=1
	s_add_u32 s0, s12, 8
	s_addc_u32 s1, s13, 0
	s_cmp_gt_u32 s17, 7
	s_cbranch_scc1 .LBB7_181
; %bb.178:                              ;   in Loop: Header=BB7_145 Depth=1
	s_cmp_eq_u32 s17, 0
	s_cbranch_scc1 .LBB7_182
; %bb.179:                              ;   in Loop: Header=BB7_145 Depth=1
	s_mov_b64 s[0:1], 0
	v_mov_b64_e32 v[12:13], 0
	s_mov_b64 s[14:15], 0
.LBB7_180:                              ;   Parent Loop BB7_145 Depth=1
                                        ; =>  This Inner Loop Header: Depth=2
	s_add_u32 s18, s12, s14
	s_addc_u32 s19, s13, s15
	global_load_ubyte v14, v27, s[18:19]
	s_add_u32 s14, s14, 1
	s_addc_u32 s15, s15, 0
	s_waitcnt vmcnt(0)
	v_and_b32_e32 v26, 0xffff, v14
	v_lshlrev_b64 v[14:15], s0, v[26:27]
	s_add_u32 s0, s0, 8
	s_addc_u32 s1, s1, 0
	v_or_b32_e32 v12, v14, v12
	s_cmp_lg_u32 s17, s14
	v_or_b32_e32 v13, v15, v13
	s_cbranch_scc1 .LBB7_180
	s_branch .LBB7_183
.LBB7_181:                              ;   in Loop: Header=BB7_145 Depth=1
	s_mov_b32 s16, 0
	s_branch .LBB7_184
.LBB7_182:                              ;   in Loop: Header=BB7_145 Depth=1
	v_mov_b64_e32 v[12:13], 0
.LBB7_183:                              ;   in Loop: Header=BB7_145 Depth=1
	s_mov_b64 s[0:1], s[12:13]
	s_mov_b32 s16, 0
	s_cbranch_execnz .LBB7_185
.LBB7_184:                              ;   in Loop: Header=BB7_145 Depth=1
	global_load_dwordx2 v[12:13], v27, s[12:13]
	s_add_i32 s16, s17, -8
.LBB7_185:                              ;   in Loop: Header=BB7_145 Depth=1
	s_add_u32 s12, s0, 8
	s_addc_u32 s13, s1, 0
	s_cmp_gt_u32 s16, 7
	s_cbranch_scc1 .LBB7_189
; %bb.186:                              ;   in Loop: Header=BB7_145 Depth=1
	s_cmp_eq_u32 s16, 0
	s_cbranch_scc1 .LBB7_190
; %bb.187:                              ;   in Loop: Header=BB7_145 Depth=1
	s_mov_b64 s[12:13], 0
	v_mov_b64_e32 v[14:15], 0
	s_mov_b64 s[14:15], 0
.LBB7_188:                              ;   Parent Loop BB7_145 Depth=1
                                        ; =>  This Inner Loop Header: Depth=2
	s_add_u32 s18, s0, s14
	s_addc_u32 s19, s1, s15
	global_load_ubyte v16, v27, s[18:19]
	s_add_u32 s14, s14, 1
	s_addc_u32 s15, s15, 0
	s_waitcnt vmcnt(0)
	v_and_b32_e32 v26, 0xffff, v16
	v_lshlrev_b64 v[16:17], s12, v[26:27]
	s_add_u32 s12, s12, 8
	s_addc_u32 s13, s13, 0
	v_or_b32_e32 v14, v16, v14
	s_cmp_lg_u32 s16, s14
	v_or_b32_e32 v15, v17, v15
	s_cbranch_scc1 .LBB7_188
	s_branch .LBB7_191
.LBB7_189:                              ;   in Loop: Header=BB7_145 Depth=1
                                        ; implicit-def: $vgpr14_vgpr15
	s_mov_b32 s17, 0
	s_branch .LBB7_192
.LBB7_190:                              ;   in Loop: Header=BB7_145 Depth=1
	v_mov_b64_e32 v[14:15], 0
.LBB7_191:                              ;   in Loop: Header=BB7_145 Depth=1
	s_mov_b64 s[12:13], s[0:1]
	s_mov_b32 s17, 0
	s_cbranch_execnz .LBB7_193
.LBB7_192:                              ;   in Loop: Header=BB7_145 Depth=1
	global_load_dwordx2 v[14:15], v27, s[0:1]
	s_add_i32 s17, s16, -8
.LBB7_193:                              ;   in Loop: Header=BB7_145 Depth=1
	s_cmp_gt_u32 s17, 7
	s_cbranch_scc1 .LBB7_197
; %bb.194:                              ;   in Loop: Header=BB7_145 Depth=1
	s_cmp_eq_u32 s17, 0
	s_cbranch_scc1 .LBB7_198
; %bb.195:                              ;   in Loop: Header=BB7_145 Depth=1
	s_mov_b64 s[0:1], 0
	v_mov_b64_e32 v[16:17], 0
	s_mov_b64 s[14:15], s[12:13]
.LBB7_196:                              ;   Parent Loop BB7_145 Depth=1
                                        ; =>  This Inner Loop Header: Depth=2
	global_load_ubyte v18, v27, s[14:15]
	s_add_i32 s17, s17, -1
	s_waitcnt vmcnt(0)
	v_and_b32_e32 v26, 0xffff, v18
	v_lshlrev_b64 v[18:19], s0, v[26:27]
	s_add_u32 s0, s0, 8
	s_addc_u32 s1, s1, 0
	s_add_u32 s14, s14, 1
	s_addc_u32 s15, s15, 0
	v_or_b32_e32 v16, v18, v16
	s_cmp_lg_u32 s17, 0
	v_or_b32_e32 v17, v19, v17
	s_cbranch_scc1 .LBB7_196
	s_branch .LBB7_199
.LBB7_197:                              ;   in Loop: Header=BB7_145 Depth=1
	s_branch .LBB7_200
.LBB7_198:                              ;   in Loop: Header=BB7_145 Depth=1
	v_mov_b64_e32 v[16:17], 0
.LBB7_199:                              ;   in Loop: Header=BB7_145 Depth=1
	s_cbranch_execnz .LBB7_201
.LBB7_200:                              ;   in Loop: Header=BB7_145 Depth=1
	global_load_dwordx2 v[16:17], v27, s[12:13]
.LBB7_201:                              ;   in Loop: Header=BB7_145 Depth=1
	v_readfirstlane_b32 s0, v25
	v_mov_b64_e32 v[28:29], 0
	s_nop 0
	v_cmp_eq_u32_e64 s[0:1], s0, v25
	s_and_saveexec_b64 s[12:13], s[0:1]
	s_cbranch_execz .LBB7_207
; %bb.202:                              ;   in Loop: Header=BB7_145 Depth=1
	global_load_dwordx2 v[20:21], v27, s[2:3] offset:24 sc0 sc1
	s_waitcnt vmcnt(0)
	buffer_inv sc0 sc1
	global_load_dwordx2 v[18:19], v27, s[2:3] offset:40
	global_load_dwordx2 v[28:29], v27, s[2:3]
	s_waitcnt vmcnt(1)
	v_and_b32_e32 v18, v18, v20
	v_and_b32_e32 v19, v19, v21
	v_mul_lo_u32 v19, v19, 24
	v_mul_hi_u32 v23, v18, 24
	v_add_u32_e32 v19, v23, v19
	v_mul_lo_u32 v18, v18, 24
	s_waitcnt vmcnt(0)
	v_lshl_add_u64 v[18:19], v[28:29], 0, v[18:19]
	global_load_dwordx2 v[18:19], v[18:19], off sc0 sc1
	s_waitcnt vmcnt(0)
	global_atomic_cmpswap_x2 v[28:29], v27, v[18:21], s[2:3] offset:24 sc0 sc1
	s_waitcnt vmcnt(0)
	buffer_inv sc0 sc1
	v_cmp_ne_u64_e32 vcc, v[28:29], v[20:21]
	s_and_saveexec_b64 s[14:15], vcc
	s_cbranch_execz .LBB7_206
; %bb.203:                              ;   in Loop: Header=BB7_145 Depth=1
	s_mov_b64 s[16:17], 0
.LBB7_204:                              ;   Parent Loop BB7_145 Depth=1
                                        ; =>  This Inner Loop Header: Depth=2
	s_sleep 1
	global_load_dwordx2 v[18:19], v27, s[2:3] offset:40
	global_load_dwordx2 v[30:31], v27, s[2:3]
	v_mov_b64_e32 v[20:21], v[28:29]
	s_waitcnt vmcnt(1)
	v_and_b32_e32 v18, v18, v20
	v_and_b32_e32 v23, v19, v21
	s_waitcnt vmcnt(0)
	v_mad_u64_u32 v[18:19], s[18:19], v18, 24, v[30:31]
	v_mov_b32_e32 v26, v19
	v_mad_u64_u32 v[28:29], s[18:19], v23, 24, v[26:27]
	v_mov_b32_e32 v19, v28
	global_load_dwordx2 v[18:19], v[18:19], off sc0 sc1
	s_waitcnt vmcnt(0)
	global_atomic_cmpswap_x2 v[28:29], v27, v[18:21], s[2:3] offset:24 sc0 sc1
	s_waitcnt vmcnt(0)
	buffer_inv sc0 sc1
	v_cmp_eq_u64_e32 vcc, v[28:29], v[20:21]
	s_or_b64 s[16:17], vcc, s[16:17]
	s_andn2_b64 exec, exec, s[16:17]
	s_cbranch_execnz .LBB7_204
; %bb.205:                              ;   in Loop: Header=BB7_145 Depth=1
	s_or_b64 exec, exec, s[16:17]
.LBB7_206:                              ;   in Loop: Header=BB7_145 Depth=1
	s_or_b64 exec, exec, s[14:15]
.LBB7_207:                              ;   in Loop: Header=BB7_145 Depth=1
	s_or_b64 exec, exec, s[12:13]
	global_load_dwordx2 v[30:31], v27, s[2:3] offset:40
	global_load_dwordx4 v[18:21], v27, s[2:3]
	v_readfirstlane_b32 s13, v29
	v_readfirstlane_b32 s12, v28
	s_mov_b64 s[14:15], exec
	s_waitcnt vmcnt(1)
	v_readfirstlane_b32 s16, v30
	v_readfirstlane_b32 s17, v31
	s_and_b64 s[16:17], s[16:17], s[12:13]
	s_mul_i32 s18, s17, 24
	s_mul_hi_u32 s19, s16, 24
	s_add_i32 s19, s19, s18
	s_mul_i32 s18, s16, 24
	s_waitcnt vmcnt(0)
	v_lshl_add_u64 v[28:29], v[18:19], 0, s[18:19]
	s_and_saveexec_b64 s[18:19], s[0:1]
	s_cbranch_execz .LBB7_209
; %bb.208:                              ;   in Loop: Header=BB7_145 Depth=1
	v_mov_b64_e32 v[30:31], s[14:15]
	global_store_dwordx4 v[28:29], v[30:33], off offset:8
.LBB7_209:                              ;   in Loop: Header=BB7_145 Depth=1
	s_or_b64 exec, exec, s[18:19]
	s_lshl_b64 s[14:15], s[16:17], 12
	v_lshl_add_u64 v[20:21], v[20:21], 0, s[14:15]
	v_cmp_lt_u64_e64 vcc, s[4:5], 57
	s_lshl_b32 s14, s10, 2
	s_add_i32 s14, s14, 28
	v_cndmask_b32_e32 v23, 0, v24, vcc
	v_and_b32_e32 v2, 0xffffff1f, v2
	s_and_b32 s14, s14, 0x1e0
	v_or_b32_e32 v2, v2, v23
	v_or_b32_e32 v2, s14, v2
	v_readfirstlane_b32 s14, v20
	v_readfirstlane_b32 s15, v21
	s_nop 4
	global_store_dwordx4 v22, v[2:5], s[14:15]
	global_store_dwordx4 v22, v[6:9], s[14:15] offset:16
	global_store_dwordx4 v22, v[10:13], s[14:15] offset:32
	global_store_dwordx4 v22, v[14:17], s[14:15] offset:48
	s_and_saveexec_b64 s[14:15], s[0:1]
	s_cbranch_execz .LBB7_217
; %bb.210:                              ;   in Loop: Header=BB7_145 Depth=1
	global_load_dwordx2 v[10:11], v27, s[2:3] offset:32 sc0 sc1
	global_load_dwordx2 v[2:3], v27, s[2:3] offset:40
	v_mov_b32_e32 v8, s12
	v_mov_b32_e32 v9, s13
	s_waitcnt vmcnt(0)
	v_readfirstlane_b32 s16, v2
	v_readfirstlane_b32 s17, v3
	s_and_b64 s[16:17], s[16:17], s[12:13]
	s_mul_i32 s17, s17, 24
	s_mul_hi_u32 s18, s16, 24
	s_mul_i32 s16, s16, 24
	s_add_i32 s17, s18, s17
	v_lshl_add_u64 v[6:7], v[18:19], 0, s[16:17]
	global_store_dwordx2 v[6:7], v[10:11], off
	buffer_wbl2 sc0 sc1
	s_waitcnt vmcnt(0)
	global_atomic_cmpswap_x2 v[4:5], v27, v[8:11], s[2:3] offset:32 sc0 sc1
	s_waitcnt vmcnt(0)
	v_cmp_ne_u64_e32 vcc, v[4:5], v[10:11]
	s_and_saveexec_b64 s[16:17], vcc
	s_cbranch_execz .LBB7_213
; %bb.211:                              ;   in Loop: Header=BB7_145 Depth=1
	s_mov_b64 s[18:19], 0
.LBB7_212:                              ;   Parent Loop BB7_145 Depth=1
                                        ; =>  This Inner Loop Header: Depth=2
	s_sleep 1
	global_store_dwordx2 v[6:7], v[4:5], off
	v_mov_b32_e32 v2, s12
	v_mov_b32_e32 v3, s13
	buffer_wbl2 sc0 sc1
	s_waitcnt vmcnt(0)
	global_atomic_cmpswap_x2 v[2:3], v27, v[2:5], s[2:3] offset:32 sc0 sc1
	s_waitcnt vmcnt(0)
	v_cmp_eq_u64_e32 vcc, v[2:3], v[4:5]
	s_or_b64 s[18:19], vcc, s[18:19]
	v_mov_b64_e32 v[4:5], v[2:3]
	s_andn2_b64 exec, exec, s[18:19]
	s_cbranch_execnz .LBB7_212
.LBB7_213:                              ;   in Loop: Header=BB7_145 Depth=1
	s_or_b64 exec, exec, s[16:17]
	global_load_dwordx2 v[2:3], v27, s[2:3] offset:16
	s_mov_b64 s[18:19], exec
	v_mbcnt_lo_u32_b32 v4, s18, 0
	v_mbcnt_hi_u32_b32 v4, s19, v4
	v_cmp_eq_u32_e32 vcc, 0, v4
	s_and_saveexec_b64 s[16:17], vcc
	s_cbranch_execz .LBB7_215
; %bb.214:                              ;   in Loop: Header=BB7_145 Depth=1
	s_bcnt1_i32_b64 s18, s[18:19]
	v_mov_b32_e32 v26, s18
	buffer_wbl2 sc0 sc1
	s_waitcnt vmcnt(0)
	global_atomic_add_x2 v[2:3], v[26:27], off offset:8 sc1
.LBB7_215:                              ;   in Loop: Header=BB7_145 Depth=1
	s_or_b64 exec, exec, s[16:17]
	s_waitcnt vmcnt(0)
	global_load_dwordx2 v[4:5], v[2:3], off offset:16
	s_waitcnt vmcnt(0)
	v_cmp_eq_u64_e32 vcc, 0, v[4:5]
	s_cbranch_vccnz .LBB7_217
; %bb.216:                              ;   in Loop: Header=BB7_145 Depth=1
	global_load_dword v26, v[2:3], off offset:24
	s_waitcnt vmcnt(0)
	v_readfirstlane_b32 s16, v26
	s_and_b32 m0, s16, 0xffffff
	buffer_wbl2 sc0 sc1
	global_store_dwordx2 v[4:5], v[26:27], off sc0 sc1
	s_sendmsg sendmsg(MSG_INTERRUPT)
.LBB7_217:                              ;   in Loop: Header=BB7_145 Depth=1
	s_or_b64 exec, exec, s[14:15]
	v_mov_b32_e32 v23, v27
	v_lshl_add_u64 v[2:3], v[20:21], 0, v[22:23]
	s_branch .LBB7_221
.LBB7_218:                              ;   in Loop: Header=BB7_221 Depth=2
	s_or_b64 exec, exec, s[14:15]
	v_readfirstlane_b32 s14, v4
	s_cmp_eq_u32 s14, 0
	s_cbranch_scc1 .LBB7_220
; %bb.219:                              ;   in Loop: Header=BB7_221 Depth=2
	s_sleep 1
	s_cbranch_execnz .LBB7_221
	s_branch .LBB7_223
.LBB7_220:                              ;   in Loop: Header=BB7_145 Depth=1
	s_branch .LBB7_223
.LBB7_221:                              ;   Parent Loop BB7_145 Depth=1
                                        ; =>  This Inner Loop Header: Depth=2
	v_mov_b32_e32 v4, 1
	s_and_saveexec_b64 s[14:15], s[0:1]
	s_cbranch_execz .LBB7_218
; %bb.222:                              ;   in Loop: Header=BB7_221 Depth=2
	global_load_dword v4, v[28:29], off offset:20 sc0 sc1
	s_waitcnt vmcnt(0)
	buffer_inv sc0 sc1
	v_and_b32_e32 v4, 1, v4
	s_branch .LBB7_218
.LBB7_223:                              ;   in Loop: Header=BB7_145 Depth=1
	global_load_dwordx2 v[2:3], v[2:3], off
	s_and_saveexec_b64 s[14:15], s[0:1]
	s_cbranch_execz .LBB7_144
; %bb.224:                              ;   in Loop: Header=BB7_145 Depth=1
	global_load_dwordx2 v[4:5], v27, s[2:3] offset:40
	global_load_dwordx2 v[12:13], v27, s[2:3] offset:24 sc0 sc1
	global_load_dwordx2 v[6:7], v27, s[2:3]
	s_waitcnt vmcnt(2)
	v_readfirstlane_b32 s16, v4
	v_readfirstlane_b32 s17, v5
	s_add_u32 s18, s16, 1
	s_addc_u32 s19, s17, 0
	s_add_u32 s0, s18, s12
	s_addc_u32 s1, s19, s13
	s_cmp_eq_u64 s[0:1], 0
	s_cselect_b32 s1, s19, s1
	s_cselect_b32 s0, s18, s0
	s_and_b64 s[12:13], s[0:1], s[16:17]
	s_mul_i32 s13, s13, 24
	s_mul_hi_u32 s16, s12, 24
	s_mul_i32 s12, s12, 24
	s_add_i32 s13, s16, s13
	s_waitcnt vmcnt(0)
	v_lshl_add_u64 v[8:9], v[6:7], 0, s[12:13]
	v_mov_b32_e32 v10, s0
	global_store_dwordx2 v[8:9], v[12:13], off
	v_mov_b32_e32 v11, s1
	buffer_wbl2 sc0 sc1
	s_waitcnt vmcnt(0)
	global_atomic_cmpswap_x2 v[6:7], v27, v[10:13], s[2:3] offset:24 sc0 sc1
	s_waitcnt vmcnt(0)
	v_cmp_ne_u64_e32 vcc, v[6:7], v[12:13]
	s_and_b64 exec, exec, vcc
	s_cbranch_execz .LBB7_144
; %bb.225:                              ;   in Loop: Header=BB7_145 Depth=1
	s_mov_b64 s[12:13], 0
.LBB7_226:                              ;   Parent Loop BB7_145 Depth=1
                                        ; =>  This Inner Loop Header: Depth=2
	s_sleep 1
	global_store_dwordx2 v[8:9], v[6:7], off
	v_mov_b32_e32 v4, s0
	v_mov_b32_e32 v5, s1
	buffer_wbl2 sc0 sc1
	s_waitcnt vmcnt(0)
	global_atomic_cmpswap_x2 v[4:5], v27, v[4:7], s[2:3] offset:24 sc0 sc1
	s_waitcnt vmcnt(0)
	v_cmp_eq_u64_e32 vcc, v[4:5], v[6:7]
	s_or_b64 s[12:13], vcc, s[12:13]
	v_mov_b64_e32 v[6:7], v[4:5]
	s_andn2_b64 exec, exec, s[12:13]
	s_cbranch_execnz .LBB7_226
	s_branch .LBB7_144
.LBB7_227:
                                        ; implicit-def: $vgpr2_vgpr3
	s_cbranch_execnz .LBB7_229
	s_branch .LBB7_255
.LBB7_228:
	s_branch .LBB7_255
.LBB7_229:
	v_readfirstlane_b32 s0, v25
	s_waitcnt vmcnt(0)
	v_mov_b64_e32 v[2:3], 0
	v_cmp_eq_u32_e64 s[0:1], s0, v25
	s_and_saveexec_b64 s[4:5], s[0:1]
	s_cbranch_execz .LBB7_235
; %bb.230:
	v_mov_b32_e32 v4, 0
	global_load_dwordx2 v[8:9], v4, s[2:3] offset:24 sc0 sc1
	s_waitcnt vmcnt(0)
	buffer_inv sc0 sc1
	global_load_dwordx2 v[2:3], v4, s[2:3] offset:40
	global_load_dwordx2 v[6:7], v4, s[2:3]
	s_waitcnt vmcnt(1)
	v_and_b32_e32 v2, v2, v8
	v_and_b32_e32 v3, v3, v9
	v_mul_lo_u32 v3, v3, 24
	v_mul_hi_u32 v5, v2, 24
	v_add_u32_e32 v3, v5, v3
	v_mul_lo_u32 v2, v2, 24
	s_waitcnt vmcnt(0)
	v_lshl_add_u64 v[2:3], v[6:7], 0, v[2:3]
	global_load_dwordx2 v[6:7], v[2:3], off sc0 sc1
	s_waitcnt vmcnt(0)
	global_atomic_cmpswap_x2 v[2:3], v4, v[6:9], s[2:3] offset:24 sc0 sc1
	s_waitcnt vmcnt(0)
	buffer_inv sc0 sc1
	v_cmp_ne_u64_e32 vcc, v[2:3], v[8:9]
	s_and_saveexec_b64 s[6:7], vcc
	s_cbranch_execz .LBB7_234
; %bb.231:
	s_mov_b64 s[10:11], 0
.LBB7_232:                              ; =>This Inner Loop Header: Depth=1
	s_sleep 1
	global_load_dwordx2 v[6:7], v4, s[2:3] offset:40
	global_load_dwordx2 v[10:11], v4, s[2:3]
	v_mov_b64_e32 v[8:9], v[2:3]
	s_waitcnt vmcnt(1)
	v_and_b32_e32 v2, v6, v8
	s_waitcnt vmcnt(0)
	v_mad_u64_u32 v[2:3], s[12:13], v2, 24, v[10:11]
	v_and_b32_e32 v5, v7, v9
	v_mov_b32_e32 v6, v3
	v_mad_u64_u32 v[6:7], s[12:13], v5, 24, v[6:7]
	v_mov_b32_e32 v3, v6
	global_load_dwordx2 v[6:7], v[2:3], off sc0 sc1
	s_waitcnt vmcnt(0)
	global_atomic_cmpswap_x2 v[2:3], v4, v[6:9], s[2:3] offset:24 sc0 sc1
	s_waitcnt vmcnt(0)
	buffer_inv sc0 sc1
	v_cmp_eq_u64_e32 vcc, v[2:3], v[8:9]
	s_or_b64 s[10:11], vcc, s[10:11]
	s_andn2_b64 exec, exec, s[10:11]
	s_cbranch_execnz .LBB7_232
; %bb.233:
	s_or_b64 exec, exec, s[10:11]
.LBB7_234:
	s_or_b64 exec, exec, s[6:7]
.LBB7_235:
	s_or_b64 exec, exec, s[4:5]
	v_mov_b32_e32 v23, 0
	global_load_dwordx2 v[8:9], v23, s[2:3] offset:40
	global_load_dwordx4 v[4:7], v23, s[2:3]
	v_readfirstlane_b32 s5, v3
	v_readfirstlane_b32 s4, v2
	s_mov_b64 s[6:7], exec
	s_waitcnt vmcnt(1)
	v_readfirstlane_b32 s10, v8
	v_readfirstlane_b32 s11, v9
	s_and_b64 s[10:11], s[10:11], s[4:5]
	s_mul_i32 s12, s11, 24
	s_mul_hi_u32 s13, s10, 24
	s_add_i32 s13, s13, s12
	s_mul_i32 s12, s10, 24
	s_waitcnt vmcnt(0)
	v_lshl_add_u64 v[8:9], v[4:5], 0, s[12:13]
	s_and_saveexec_b64 s[12:13], s[0:1]
	s_cbranch_execz .LBB7_237
; %bb.236:
	v_mov_b64_e32 v[10:11], s[6:7]
	v_mov_b32_e32 v12, 2
	v_mov_b32_e32 v13, 1
	global_store_dwordx4 v[8:9], v[10:13], off offset:8
.LBB7_237:
	s_or_b64 exec, exec, s[12:13]
	s_lshl_b64 s[6:7], s[10:11], 12
	v_lshl_add_u64 v[6:7], v[6:7], 0, s[6:7]
	s_movk_i32 s6, 0xff1f
	s_mov_b32 s12, 0
	v_and_or_b32 v0, v0, s6, 32
	v_mov_b32_e32 v2, v23
	v_mov_b32_e32 v3, v23
	v_readfirstlane_b32 s6, v6
	v_readfirstlane_b32 s7, v7
	s_mov_b32 s13, s12
	s_mov_b32 s14, s12
	s_mov_b32 s15, s12
	s_nop 1
	global_store_dwordx4 v22, v[0:3], s[6:7]
	s_nop 1
	v_mov_b64_e32 v[0:1], s[12:13]
	v_mov_b64_e32 v[2:3], s[14:15]
	global_store_dwordx4 v22, v[0:3], s[6:7] offset:16
	global_store_dwordx4 v22, v[0:3], s[6:7] offset:32
	;; [unrolled: 1-line block ×3, first 2 shown]
	s_and_saveexec_b64 s[6:7], s[0:1]
	s_cbranch_execz .LBB7_245
; %bb.238:
	v_mov_b32_e32 v10, 0
	global_load_dwordx2 v[14:15], v10, s[2:3] offset:32 sc0 sc1
	global_load_dwordx2 v[0:1], v10, s[2:3] offset:40
	v_mov_b32_e32 v12, s4
	v_mov_b32_e32 v13, s5
	s_waitcnt vmcnt(0)
	v_readfirstlane_b32 s10, v0
	v_readfirstlane_b32 s11, v1
	s_and_b64 s[10:11], s[10:11], s[4:5]
	s_mul_i32 s11, s11, 24
	s_mul_hi_u32 s12, s10, 24
	s_mul_i32 s10, s10, 24
	s_add_i32 s11, s12, s11
	v_lshl_add_u64 v[4:5], v[4:5], 0, s[10:11]
	global_store_dwordx2 v[4:5], v[14:15], off
	buffer_wbl2 sc0 sc1
	s_waitcnt vmcnt(0)
	global_atomic_cmpswap_x2 v[2:3], v10, v[12:15], s[2:3] offset:32 sc0 sc1
	s_waitcnt vmcnt(0)
	v_cmp_ne_u64_e32 vcc, v[2:3], v[14:15]
	s_and_saveexec_b64 s[10:11], vcc
	s_cbranch_execz .LBB7_241
; %bb.239:
	s_mov_b64 s[12:13], 0
.LBB7_240:                              ; =>This Inner Loop Header: Depth=1
	s_sleep 1
	global_store_dwordx2 v[4:5], v[2:3], off
	v_mov_b32_e32 v0, s4
	v_mov_b32_e32 v1, s5
	buffer_wbl2 sc0 sc1
	s_waitcnt vmcnt(0)
	global_atomic_cmpswap_x2 v[0:1], v10, v[0:3], s[2:3] offset:32 sc0 sc1
	s_waitcnt vmcnt(0)
	v_cmp_eq_u64_e32 vcc, v[0:1], v[2:3]
	s_or_b64 s[12:13], vcc, s[12:13]
	v_mov_b64_e32 v[2:3], v[0:1]
	s_andn2_b64 exec, exec, s[12:13]
	s_cbranch_execnz .LBB7_240
.LBB7_241:
	s_or_b64 exec, exec, s[10:11]
	v_mov_b32_e32 v3, 0
	global_load_dwordx2 v[0:1], v3, s[2:3] offset:16
	s_mov_b64 s[10:11], exec
	v_mbcnt_lo_u32_b32 v2, s10, 0
	v_mbcnt_hi_u32_b32 v2, s11, v2
	v_cmp_eq_u32_e32 vcc, 0, v2
	s_and_saveexec_b64 s[12:13], vcc
	s_cbranch_execz .LBB7_243
; %bb.242:
	s_bcnt1_i32_b64 s10, s[10:11]
	v_mov_b32_e32 v2, s10
	buffer_wbl2 sc0 sc1
	s_waitcnt vmcnt(0)
	global_atomic_add_x2 v[0:1], v[2:3], off offset:8 sc1
.LBB7_243:
	s_or_b64 exec, exec, s[12:13]
	s_waitcnt vmcnt(0)
	global_load_dwordx2 v[2:3], v[0:1], off offset:16
	s_waitcnt vmcnt(0)
	v_cmp_eq_u64_e32 vcc, 0, v[2:3]
	s_cbranch_vccnz .LBB7_245
; %bb.244:
	global_load_dword v0, v[0:1], off offset:24
	v_mov_b32_e32 v1, 0
	s_waitcnt vmcnt(0)
	v_readfirstlane_b32 s10, v0
	s_and_b32 m0, s10, 0xffffff
	buffer_wbl2 sc0 sc1
	global_store_dwordx2 v[2:3], v[0:1], off sc0 sc1
	s_sendmsg sendmsg(MSG_INTERRUPT)
.LBB7_245:
	s_or_b64 exec, exec, s[6:7]
	v_lshl_add_u64 v[0:1], v[6:7], 0, v[22:23]
	s_branch .LBB7_249
.LBB7_246:                              ;   in Loop: Header=BB7_249 Depth=1
	s_or_b64 exec, exec, s[6:7]
	v_readfirstlane_b32 s6, v2
	s_cmp_eq_u32 s6, 0
	s_cbranch_scc1 .LBB7_248
; %bb.247:                              ;   in Loop: Header=BB7_249 Depth=1
	s_sleep 1
	s_cbranch_execnz .LBB7_249
	s_branch .LBB7_251
.LBB7_248:
	s_branch .LBB7_251
.LBB7_249:                              ; =>This Inner Loop Header: Depth=1
	v_mov_b32_e32 v2, 1
	s_and_saveexec_b64 s[6:7], s[0:1]
	s_cbranch_execz .LBB7_246
; %bb.250:                              ;   in Loop: Header=BB7_249 Depth=1
	global_load_dword v2, v[8:9], off offset:20 sc0 sc1
	s_waitcnt vmcnt(0)
	buffer_inv sc0 sc1
	v_and_b32_e32 v2, 1, v2
	s_branch .LBB7_246
.LBB7_251:
	global_load_dwordx2 v[2:3], v[0:1], off
	s_and_saveexec_b64 s[6:7], s[0:1]
	s_cbranch_execz .LBB7_254
; %bb.252:
	v_mov_b32_e32 v8, 0
	global_load_dwordx2 v[0:1], v8, s[2:3] offset:40
	global_load_dwordx2 v[12:13], v8, s[2:3] offset:24 sc0 sc1
	global_load_dwordx2 v[4:5], v8, s[2:3]
	s_waitcnt vmcnt(2)
	v_readfirstlane_b32 s10, v0
	v_readfirstlane_b32 s11, v1
	s_add_u32 s12, s10, 1
	s_addc_u32 s13, s11, 0
	s_add_u32 s0, s12, s4
	s_addc_u32 s1, s13, s5
	s_cmp_eq_u64 s[0:1], 0
	s_cselect_b32 s1, s13, s1
	s_cselect_b32 s0, s12, s0
	s_and_b64 s[4:5], s[0:1], s[10:11]
	s_mul_i32 s5, s5, 24
	s_mul_hi_u32 s10, s4, 24
	s_mul_i32 s4, s4, 24
	s_add_i32 s5, s10, s5
	s_waitcnt vmcnt(0)
	v_lshl_add_u64 v[0:1], v[4:5], 0, s[4:5]
	v_mov_b32_e32 v10, s0
	global_store_dwordx2 v[0:1], v[12:13], off
	v_mov_b32_e32 v11, s1
	buffer_wbl2 sc0 sc1
	s_waitcnt vmcnt(0)
	global_atomic_cmpswap_x2 v[6:7], v8, v[10:13], s[2:3] offset:24 sc0 sc1
	s_mov_b64 s[4:5], 0
	s_waitcnt vmcnt(0)
	v_cmp_ne_u64_e32 vcc, v[6:7], v[12:13]
	s_and_b64 exec, exec, vcc
	s_cbranch_execz .LBB7_254
.LBB7_253:                              ; =>This Inner Loop Header: Depth=1
	s_sleep 1
	global_store_dwordx2 v[0:1], v[6:7], off
	v_mov_b32_e32 v4, s0
	v_mov_b32_e32 v5, s1
	buffer_wbl2 sc0 sc1
	s_waitcnt vmcnt(0)
	global_atomic_cmpswap_x2 v[4:5], v8, v[4:7], s[2:3] offset:24 sc0 sc1
	s_waitcnt vmcnt(0)
	v_cmp_eq_u64_e32 vcc, v[4:5], v[6:7]
	s_or_b64 s[4:5], vcc, s[4:5]
	v_mov_b64_e32 v[6:7], v[4:5]
	s_andn2_b64 exec, exec, s[4:5]
	s_cbranch_execnz .LBB7_253
.LBB7_254:
	s_or_b64 exec, exec, s[6:7]
.LBB7_255:
	v_readfirstlane_b32 s0, v25
	s_waitcnt vmcnt(0)
	v_mov_b64_e32 v[0:1], 0
	v_cmp_eq_u32_e64 s[0:1], s0, v25
	s_and_saveexec_b64 s[4:5], s[0:1]
	s_cbranch_execz .LBB7_261
; %bb.256:
	v_mov_b32_e32 v4, 0
	global_load_dwordx2 v[8:9], v4, s[2:3] offset:24 sc0 sc1
	s_waitcnt vmcnt(0)
	buffer_inv sc0 sc1
	global_load_dwordx2 v[0:1], v4, s[2:3] offset:40
	global_load_dwordx2 v[6:7], v4, s[2:3]
	s_waitcnt vmcnt(1)
	v_and_b32_e32 v0, v0, v8
	v_and_b32_e32 v1, v1, v9
	v_mul_lo_u32 v1, v1, 24
	v_mul_hi_u32 v5, v0, 24
	v_add_u32_e32 v1, v5, v1
	v_mul_lo_u32 v0, v0, 24
	s_waitcnt vmcnt(0)
	v_lshl_add_u64 v[0:1], v[6:7], 0, v[0:1]
	global_load_dwordx2 v[6:7], v[0:1], off sc0 sc1
	s_waitcnt vmcnt(0)
	global_atomic_cmpswap_x2 v[0:1], v4, v[6:9], s[2:3] offset:24 sc0 sc1
	s_waitcnt vmcnt(0)
	buffer_inv sc0 sc1
	v_cmp_ne_u64_e32 vcc, v[0:1], v[8:9]
	s_and_saveexec_b64 s[6:7], vcc
	s_cbranch_execz .LBB7_260
; %bb.257:
	s_mov_b64 s[10:11], 0
.LBB7_258:                              ; =>This Inner Loop Header: Depth=1
	s_sleep 1
	global_load_dwordx2 v[6:7], v4, s[2:3] offset:40
	global_load_dwordx2 v[10:11], v4, s[2:3]
	v_mov_b64_e32 v[8:9], v[0:1]
	s_waitcnt vmcnt(1)
	v_and_b32_e32 v0, v6, v8
	s_waitcnt vmcnt(0)
	v_mad_u64_u32 v[0:1], s[12:13], v0, 24, v[10:11]
	v_and_b32_e32 v5, v7, v9
	v_mov_b32_e32 v6, v1
	v_mad_u64_u32 v[6:7], s[12:13], v5, 24, v[6:7]
	v_mov_b32_e32 v1, v6
	global_load_dwordx2 v[6:7], v[0:1], off sc0 sc1
	s_waitcnt vmcnt(0)
	global_atomic_cmpswap_x2 v[0:1], v4, v[6:9], s[2:3] offset:24 sc0 sc1
	s_waitcnt vmcnt(0)
	buffer_inv sc0 sc1
	v_cmp_eq_u64_e32 vcc, v[0:1], v[8:9]
	s_or_b64 s[10:11], vcc, s[10:11]
	s_andn2_b64 exec, exec, s[10:11]
	s_cbranch_execnz .LBB7_258
; %bb.259:
	s_or_b64 exec, exec, s[10:11]
.LBB7_260:
	s_or_b64 exec, exec, s[6:7]
.LBB7_261:
	s_or_b64 exec, exec, s[4:5]
	v_mov_b32_e32 v23, 0
	global_load_dwordx2 v[4:5], v23, s[2:3] offset:40
	global_load_dwordx4 v[6:9], v23, s[2:3]
	v_readfirstlane_b32 s5, v1
	v_readfirstlane_b32 s4, v0
	s_mov_b64 s[6:7], exec
	s_waitcnt vmcnt(1)
	v_readfirstlane_b32 s10, v4
	v_readfirstlane_b32 s11, v5
	s_and_b64 s[10:11], s[10:11], s[4:5]
	s_mul_i32 s12, s11, 24
	s_mul_hi_u32 s13, s10, 24
	s_add_i32 s13, s13, s12
	s_mul_i32 s12, s10, 24
	s_waitcnt vmcnt(0)
	v_lshl_add_u64 v[10:11], v[6:7], 0, s[12:13]
	s_and_saveexec_b64 s[12:13], s[0:1]
	s_cbranch_execz .LBB7_263
; %bb.262:
	v_mov_b64_e32 v[12:13], s[6:7]
	v_mov_b32_e32 v14, 2
	v_mov_b32_e32 v15, 1
	global_store_dwordx4 v[10:11], v[12:15], off offset:8
.LBB7_263:
	s_or_b64 exec, exec, s[12:13]
	s_lshl_b64 s[6:7], s[10:11], 12
	v_lshl_add_u64 v[8:9], v[8:9], 0, s[6:7]
	s_movk_i32 s6, 0xff1f
	s_mov_b32 s12, 0
	v_and_or_b32 v2, v2, s6, 32
	v_mov_b32_e32 v4, 0x41
	v_mov_b32_e32 v5, v23
	v_readfirstlane_b32 s6, v8
	v_readfirstlane_b32 s7, v9
	s_mov_b32 s13, s12
	s_mov_b32 s14, s12
	;; [unrolled: 1-line block ×3, first 2 shown]
	s_nop 1
	global_store_dwordx4 v22, v[2:5], s[6:7]
	v_mov_b64_e32 v[0:1], s[12:13]
	s_nop 0
	v_mov_b64_e32 v[2:3], s[14:15]
	global_store_dwordx4 v22, v[0:3], s[6:7] offset:16
	global_store_dwordx4 v22, v[0:3], s[6:7] offset:32
	global_store_dwordx4 v22, v[0:3], s[6:7] offset:48
	s_and_saveexec_b64 s[6:7], s[0:1]
	s_cbranch_execz .LBB7_271
; %bb.264:
	v_mov_b32_e32 v12, 0
	global_load_dwordx2 v[16:17], v12, s[2:3] offset:32 sc0 sc1
	global_load_dwordx2 v[0:1], v12, s[2:3] offset:40
	v_mov_b32_e32 v14, s4
	v_mov_b32_e32 v15, s5
	s_waitcnt vmcnt(0)
	v_readfirstlane_b32 s10, v0
	v_readfirstlane_b32 s11, v1
	s_and_b64 s[10:11], s[10:11], s[4:5]
	s_mul_i32 s11, s11, 24
	s_mul_hi_u32 s12, s10, 24
	s_mul_i32 s10, s10, 24
	s_add_i32 s11, s12, s11
	v_lshl_add_u64 v[4:5], v[6:7], 0, s[10:11]
	global_store_dwordx2 v[4:5], v[16:17], off
	buffer_wbl2 sc0 sc1
	s_waitcnt vmcnt(0)
	global_atomic_cmpswap_x2 v[2:3], v12, v[14:17], s[2:3] offset:32 sc0 sc1
	s_waitcnt vmcnt(0)
	v_cmp_ne_u64_e32 vcc, v[2:3], v[16:17]
	s_and_saveexec_b64 s[10:11], vcc
	s_cbranch_execz .LBB7_267
; %bb.265:
	s_mov_b64 s[12:13], 0
.LBB7_266:                              ; =>This Inner Loop Header: Depth=1
	s_sleep 1
	global_store_dwordx2 v[4:5], v[2:3], off
	v_mov_b32_e32 v0, s4
	v_mov_b32_e32 v1, s5
	buffer_wbl2 sc0 sc1
	s_waitcnt vmcnt(0)
	global_atomic_cmpswap_x2 v[0:1], v12, v[0:3], s[2:3] offset:32 sc0 sc1
	s_waitcnt vmcnt(0)
	v_cmp_eq_u64_e32 vcc, v[0:1], v[2:3]
	s_or_b64 s[12:13], vcc, s[12:13]
	v_mov_b64_e32 v[2:3], v[0:1]
	s_andn2_b64 exec, exec, s[12:13]
	s_cbranch_execnz .LBB7_266
.LBB7_267:
	s_or_b64 exec, exec, s[10:11]
	v_mov_b32_e32 v3, 0
	global_load_dwordx2 v[0:1], v3, s[2:3] offset:16
	s_mov_b64 s[10:11], exec
	v_mbcnt_lo_u32_b32 v2, s10, 0
	v_mbcnt_hi_u32_b32 v2, s11, v2
	v_cmp_eq_u32_e32 vcc, 0, v2
	s_and_saveexec_b64 s[12:13], vcc
	s_cbranch_execz .LBB7_269
; %bb.268:
	s_bcnt1_i32_b64 s10, s[10:11]
	v_mov_b32_e32 v2, s10
	buffer_wbl2 sc0 sc1
	s_waitcnt vmcnt(0)
	global_atomic_add_x2 v[0:1], v[2:3], off offset:8 sc1
.LBB7_269:
	s_or_b64 exec, exec, s[12:13]
	s_waitcnt vmcnt(0)
	global_load_dwordx2 v[2:3], v[0:1], off offset:16
	s_waitcnt vmcnt(0)
	v_cmp_eq_u64_e32 vcc, 0, v[2:3]
	s_cbranch_vccnz .LBB7_271
; %bb.270:
	global_load_dword v0, v[0:1], off offset:24
	v_mov_b32_e32 v1, 0
	s_waitcnt vmcnt(0)
	v_readfirstlane_b32 s10, v0
	s_and_b32 m0, s10, 0xffffff
	buffer_wbl2 sc0 sc1
	global_store_dwordx2 v[2:3], v[0:1], off sc0 sc1
	s_sendmsg sendmsg(MSG_INTERRUPT)
.LBB7_271:
	s_or_b64 exec, exec, s[6:7]
	v_lshl_add_u64 v[0:1], v[8:9], 0, v[22:23]
	s_branch .LBB7_275
.LBB7_272:                              ;   in Loop: Header=BB7_275 Depth=1
	s_or_b64 exec, exec, s[6:7]
	v_readfirstlane_b32 s6, v2
	s_cmp_eq_u32 s6, 0
	s_cbranch_scc1 .LBB7_274
; %bb.273:                              ;   in Loop: Header=BB7_275 Depth=1
	s_sleep 1
	s_cbranch_execnz .LBB7_275
	s_branch .LBB7_277
.LBB7_274:
	s_branch .LBB7_277
.LBB7_275:                              ; =>This Inner Loop Header: Depth=1
	v_mov_b32_e32 v2, 1
	s_and_saveexec_b64 s[6:7], s[0:1]
	s_cbranch_execz .LBB7_272
; %bb.276:                              ;   in Loop: Header=BB7_275 Depth=1
	global_load_dword v2, v[10:11], off offset:20 sc0 sc1
	s_waitcnt vmcnt(0)
	buffer_inv sc0 sc1
	v_and_b32_e32 v2, 1, v2
	s_branch .LBB7_272
.LBB7_277:
	global_load_dwordx2 v[0:1], v[0:1], off
	s_and_saveexec_b64 s[6:7], s[0:1]
	s_cbranch_execz .LBB7_280
; %bb.278:
	v_mov_b32_e32 v8, 0
	global_load_dwordx2 v[2:3], v8, s[2:3] offset:40
	global_load_dwordx2 v[12:13], v8, s[2:3] offset:24 sc0 sc1
	global_load_dwordx2 v[4:5], v8, s[2:3]
	s_waitcnt vmcnt(2)
	v_readfirstlane_b32 s10, v2
	v_readfirstlane_b32 s11, v3
	s_add_u32 s12, s10, 1
	s_addc_u32 s13, s11, 0
	s_add_u32 s0, s12, s4
	s_addc_u32 s1, s13, s5
	s_cmp_eq_u64 s[0:1], 0
	s_cselect_b32 s1, s13, s1
	s_cselect_b32 s0, s12, s0
	s_and_b64 s[4:5], s[0:1], s[10:11]
	s_mul_i32 s5, s5, 24
	s_mul_hi_u32 s10, s4, 24
	s_mul_i32 s4, s4, 24
	s_add_i32 s5, s10, s5
	s_waitcnt vmcnt(0)
	v_lshl_add_u64 v[6:7], v[4:5], 0, s[4:5]
	v_mov_b32_e32 v10, s0
	global_store_dwordx2 v[6:7], v[12:13], off
	v_mov_b32_e32 v11, s1
	buffer_wbl2 sc0 sc1
	s_waitcnt vmcnt(0)
	global_atomic_cmpswap_x2 v[4:5], v8, v[10:13], s[2:3] offset:24 sc0 sc1
	s_mov_b64 s[4:5], 0
	s_waitcnt vmcnt(0)
	v_cmp_ne_u64_e32 vcc, v[4:5], v[12:13]
	s_and_b64 exec, exec, vcc
	s_cbranch_execz .LBB7_280
.LBB7_279:                              ; =>This Inner Loop Header: Depth=1
	s_sleep 1
	global_store_dwordx2 v[6:7], v[4:5], off
	v_mov_b32_e32 v2, s0
	v_mov_b32_e32 v3, s1
	buffer_wbl2 sc0 sc1
	s_waitcnt vmcnt(0)
	global_atomic_cmpswap_x2 v[2:3], v8, v[2:5], s[2:3] offset:24 sc0 sc1
	s_waitcnt vmcnt(0)
	v_cmp_eq_u64_e32 vcc, v[2:3], v[4:5]
	s_or_b64 s[4:5], vcc, s[4:5]
	v_mov_b64_e32 v[4:5], v[2:3]
	s_andn2_b64 exec, exec, s[4:5]
	s_cbranch_execnz .LBB7_279
.LBB7_280:
	s_or_b64 exec, exec, s[6:7]
	s_getpc_b64 s[0:1]
	s_add_u32 s0, s0, __FUNCTION__._ZL18flash_attn_ext_vecILi64ELi1EL9ggml_type3ELS0_30ELb1EEvPKcS2_S2_S2_S2_PKiPfP15HIP_vector_typeIfLj2EEffffjfiS6_IjLj3EEiiiiiiiiiiiliiliiiiil@rel32@lo+4
	s_addc_u32 s1, s1, __FUNCTION__._ZL18flash_attn_ext_vecILi64ELi1EL9ggml_type3ELS0_30ELb1EEvPKcS2_S2_S2_S2_PKiPfP15HIP_vector_typeIfLj2EEffffjfiS6_IjLj3EEiiiiiiiiiiiliiliiiiil@rel32@hi+12
	s_cmp_lg_u64 s[0:1], 0
	s_cselect_b32 s4, 19, 0
	s_getpc_b64 s[2:3]
	s_add_u32 s2, s2, __ockl_printf_append_string_n@rel32@lo+4
	s_addc_u32 s3, s3, __ockl_printf_append_string_n@rel32@hi+12
	v_mov_b32_e32 v2, s0
	v_mov_b32_e32 v3, s1
	;; [unrolled: 1-line block ×4, first 2 shown]
	s_mov_b64 s[18:19], s[8:9]
	s_swappc_b64 s[30:31], s[2:3]
	s_getpc_b64 s[0:1]
	s_add_u32 s0, s0, __ockl_printf_append_args@rel32@lo+4
	s_addc_u32 s1, s1, __ockl_printf_append_args@rel32@hi+12
	s_mov_b64 s[8:9], s[18:19]
	v_mov_b32_e32 v2, 0x514
	v_mov_b32_e32 v3, 0
	;; [unrolled: 1-line block ×3, first 2 shown]
	s_swappc_b64 s[30:31], s[0:1]
	s_trap 2
.Lfunc_end7:
	.size	_ZL14no_device_codePKciS0_iS0_, .Lfunc_end7-_ZL14no_device_codePKciS0_iS0_
                                        ; -- End function
	.set .L_ZL14no_device_codePKciS0_iS0_.num_vgpr, max(41, .L__ockl_printf_append_string_n.num_vgpr, .L__ockl_printf_append_args.num_vgpr)
	.set .L_ZL14no_device_codePKciS0_iS0_.num_agpr, max(0, .L__ockl_printf_append_string_n.num_agpr, .L__ockl_printf_append_args.num_agpr)
	.set .L_ZL14no_device_codePKciS0_iS0_.numbered_sgpr, max(34, .L__ockl_printf_append_string_n.numbered_sgpr, .L__ockl_printf_append_args.numbered_sgpr)
	.set .L_ZL14no_device_codePKciS0_iS0_.num_named_barrier, max(0, .L__ockl_printf_append_string_n.num_named_barrier, .L__ockl_printf_append_args.num_named_barrier)
	.set .L_ZL14no_device_codePKciS0_iS0_.private_seg_size, 16+max(.L__ockl_printf_append_string_n.private_seg_size, .L__ockl_printf_append_args.private_seg_size)
	.set .L_ZL14no_device_codePKciS0_iS0_.uses_vcc, or(1, .L__ockl_printf_append_string_n.uses_vcc, .L__ockl_printf_append_args.uses_vcc)
	.set .L_ZL14no_device_codePKciS0_iS0_.uses_flat_scratch, or(0, .L__ockl_printf_append_string_n.uses_flat_scratch, .L__ockl_printf_append_args.uses_flat_scratch)
	.set .L_ZL14no_device_codePKciS0_iS0_.has_dyn_sized_stack, or(0, .L__ockl_printf_append_string_n.has_dyn_sized_stack, .L__ockl_printf_append_args.has_dyn_sized_stack)
	.set .L_ZL14no_device_codePKciS0_iS0_.has_recursion, or(0, .L__ockl_printf_append_string_n.has_recursion, .L__ockl_printf_append_args.has_recursion)
	.set .L_ZL14no_device_codePKciS0_iS0_.has_indirect_call, or(0, .L__ockl_printf_append_string_n.has_indirect_call, .L__ockl_printf_append_args.has_indirect_call)
	.section	.AMDGPU.csdata,"",@progbits
; Function info:
; codeLenInByte = 9536
; TotalNumSgprs: 40
; NumVgprs: 52
; NumAgprs: 0
; TotalNumVgprs: 52
; ScratchSize: 16
; MemoryBound: 0
	.section	.text._ZL18flash_attn_ext_vecILi64ELi1EL9ggml_type3ELS0_30ELb1EEvPKcS2_S2_S2_S2_PKiPfP15HIP_vector_typeIfLj2EEffffjfiS6_IjLj3EEiiiiiiiiiiiliiliiiiil,"axG",@progbits,_ZL18flash_attn_ext_vecILi64ELi1EL9ggml_type3ELS0_30ELb1EEvPKcS2_S2_S2_S2_PKiPfP15HIP_vector_typeIfLj2EEffffjfiS6_IjLj3EEiiiiiiiiiiiliiliiiiil,comdat
	.globl	_ZL18flash_attn_ext_vecILi64ELi1EL9ggml_type3ELS0_30ELb1EEvPKcS2_S2_S2_S2_PKiPfP15HIP_vector_typeIfLj2EEffffjfiS6_IjLj3EEiiiiiiiiiiiliiliiiiil ; -- Begin function _ZL18flash_attn_ext_vecILi64ELi1EL9ggml_type3ELS0_30ELb1EEvPKcS2_S2_S2_S2_PKiPfP15HIP_vector_typeIfLj2EEffffjfiS6_IjLj3EEiiiiiiiiiiiliiliiiiil
	.p2align	8
	.type	_ZL18flash_attn_ext_vecILi64ELi1EL9ggml_type3ELS0_30ELb1EEvPKcS2_S2_S2_S2_PKiPfP15HIP_vector_typeIfLj2EEffffjfiS6_IjLj3EEiiiiiiiiiiiliiliiiiil,@function
_ZL18flash_attn_ext_vecILi64ELi1EL9ggml_type3ELS0_30ELb1EEvPKcS2_S2_S2_S2_PKiPfP15HIP_vector_typeIfLj2EEffffjfiS6_IjLj3EEiiiiiiiiiiiliiliiiiil: ; @_ZL18flash_attn_ext_vecILi64ELi1EL9ggml_type3ELS0_30ELb1EEvPKcS2_S2_S2_S2_PKiPfP15HIP_vector_typeIfLj2EEffffjfiS6_IjLj3EEiiiiiiiiiiiliiliiiiil
; %bb.0:
	s_add_u32 s8, s0, 0xd0
	s_addc_u32 s9, s1, 0
	s_getpc_b64 s[0:1]
	s_add_u32 s0, s0, _ZL14no_device_codePKciS0_iS0_@rel32@lo+4
	s_addc_u32 s1, s1, _ZL14no_device_codePKciS0_iS0_@rel32@hi+12
	s_mov_b32 s32, 0
	s_swappc_b64 s[30:31], s[0:1]
	.section	.rodata,"a",@progbits
	.p2align	6, 0x0
	.amdhsa_kernel _ZL18flash_attn_ext_vecILi64ELi1EL9ggml_type3ELS0_30ELb1EEvPKcS2_S2_S2_S2_PKiPfP15HIP_vector_typeIfLj2EEffffjfiS6_IjLj3EEiiiiiiiiiiiliiliiiiil
		.amdhsa_group_segment_fixed_size 0
		.amdhsa_private_segment_fixed_size 16
		.amdhsa_kernarg_size 464
		.amdhsa_user_sgpr_count 2
		.amdhsa_user_sgpr_dispatch_ptr 0
		.amdhsa_user_sgpr_queue_ptr 0
		.amdhsa_user_sgpr_kernarg_segment_ptr 1
		.amdhsa_user_sgpr_dispatch_id 0
		.amdhsa_user_sgpr_kernarg_preload_length 0
		.amdhsa_user_sgpr_kernarg_preload_offset 0
		.amdhsa_user_sgpr_private_segment_size 0
		.amdhsa_uses_dynamic_stack 0
		.amdhsa_enable_private_segment 1
		.amdhsa_system_sgpr_workgroup_id_x 1
		.amdhsa_system_sgpr_workgroup_id_y 0
		.amdhsa_system_sgpr_workgroup_id_z 0
		.amdhsa_system_sgpr_workgroup_info 0
		.amdhsa_system_vgpr_workitem_id 0
		.amdhsa_next_free_vgpr 52
		.amdhsa_next_free_sgpr 34
		.amdhsa_accum_offset 52
		.amdhsa_reserve_vcc 1
		.amdhsa_float_round_mode_32 0
		.amdhsa_float_round_mode_16_64 0
		.amdhsa_float_denorm_mode_32 3
		.amdhsa_float_denorm_mode_16_64 3
		.amdhsa_dx10_clamp 1
		.amdhsa_ieee_mode 1
		.amdhsa_fp16_overflow 0
		.amdhsa_tg_split 0
		.amdhsa_exception_fp_ieee_invalid_op 0
		.amdhsa_exception_fp_denorm_src 0
		.amdhsa_exception_fp_ieee_div_zero 0
		.amdhsa_exception_fp_ieee_overflow 0
		.amdhsa_exception_fp_ieee_underflow 0
		.amdhsa_exception_fp_ieee_inexact 0
		.amdhsa_exception_int_div_zero 0
	.end_amdhsa_kernel
	.section	.text._ZL18flash_attn_ext_vecILi64ELi1EL9ggml_type3ELS0_30ELb1EEvPKcS2_S2_S2_S2_PKiPfP15HIP_vector_typeIfLj2EEffffjfiS6_IjLj3EEiiiiiiiiiiiliiliiiiil,"axG",@progbits,_ZL18flash_attn_ext_vecILi64ELi1EL9ggml_type3ELS0_30ELb1EEvPKcS2_S2_S2_S2_PKiPfP15HIP_vector_typeIfLj2EEffffjfiS6_IjLj3EEiiiiiiiiiiiliiliiiiil,comdat
.Lfunc_end8:
	.size	_ZL18flash_attn_ext_vecILi64ELi1EL9ggml_type3ELS0_30ELb1EEvPKcS2_S2_S2_S2_PKiPfP15HIP_vector_typeIfLj2EEffffjfiS6_IjLj3EEiiiiiiiiiiiliiliiiiil, .Lfunc_end8-_ZL18flash_attn_ext_vecILi64ELi1EL9ggml_type3ELS0_30ELb1EEvPKcS2_S2_S2_S2_PKiPfP15HIP_vector_typeIfLj2EEffffjfiS6_IjLj3EEiiiiiiiiiiiliiliiiiil
                                        ; -- End function
	.set _ZL18flash_attn_ext_vecILi64ELi1EL9ggml_type3ELS0_30ELb1EEvPKcS2_S2_S2_S2_PKiPfP15HIP_vector_typeIfLj2EEffffjfiS6_IjLj3EEiiiiiiiiiiiliiliiiiil.num_vgpr, max(0, .L_ZL14no_device_codePKciS0_iS0_.num_vgpr)
	.set _ZL18flash_attn_ext_vecILi64ELi1EL9ggml_type3ELS0_30ELb1EEvPKcS2_S2_S2_S2_PKiPfP15HIP_vector_typeIfLj2EEffffjfiS6_IjLj3EEiiiiiiiiiiiliiliiiiil.num_agpr, max(0, .L_ZL14no_device_codePKciS0_iS0_.num_agpr)
	.set _ZL18flash_attn_ext_vecILi64ELi1EL9ggml_type3ELS0_30ELb1EEvPKcS2_S2_S2_S2_PKiPfP15HIP_vector_typeIfLj2EEffffjfiS6_IjLj3EEiiiiiiiiiiiliiliiiiil.numbered_sgpr, max(33, .L_ZL14no_device_codePKciS0_iS0_.numbered_sgpr)
	.set _ZL18flash_attn_ext_vecILi64ELi1EL9ggml_type3ELS0_30ELb1EEvPKcS2_S2_S2_S2_PKiPfP15HIP_vector_typeIfLj2EEffffjfiS6_IjLj3EEiiiiiiiiiiiliiliiiiil.num_named_barrier, max(0, .L_ZL14no_device_codePKciS0_iS0_.num_named_barrier)
	.set _ZL18flash_attn_ext_vecILi64ELi1EL9ggml_type3ELS0_30ELb1EEvPKcS2_S2_S2_S2_PKiPfP15HIP_vector_typeIfLj2EEffffjfiS6_IjLj3EEiiiiiiiiiiiliiliiiiil.private_seg_size, 0+max(.L_ZL14no_device_codePKciS0_iS0_.private_seg_size)
	.set _ZL18flash_attn_ext_vecILi64ELi1EL9ggml_type3ELS0_30ELb1EEvPKcS2_S2_S2_S2_PKiPfP15HIP_vector_typeIfLj2EEffffjfiS6_IjLj3EEiiiiiiiiiiiliiliiiiil.uses_vcc, or(1, .L_ZL14no_device_codePKciS0_iS0_.uses_vcc)
	.set _ZL18flash_attn_ext_vecILi64ELi1EL9ggml_type3ELS0_30ELb1EEvPKcS2_S2_S2_S2_PKiPfP15HIP_vector_typeIfLj2EEffffjfiS6_IjLj3EEiiiiiiiiiiiliiliiiiil.uses_flat_scratch, or(0, .L_ZL14no_device_codePKciS0_iS0_.uses_flat_scratch)
	.set _ZL18flash_attn_ext_vecILi64ELi1EL9ggml_type3ELS0_30ELb1EEvPKcS2_S2_S2_S2_PKiPfP15HIP_vector_typeIfLj2EEffffjfiS6_IjLj3EEiiiiiiiiiiiliiliiiiil.has_dyn_sized_stack, or(0, .L_ZL14no_device_codePKciS0_iS0_.has_dyn_sized_stack)
	.set _ZL18flash_attn_ext_vecILi64ELi1EL9ggml_type3ELS0_30ELb1EEvPKcS2_S2_S2_S2_PKiPfP15HIP_vector_typeIfLj2EEffffjfiS6_IjLj3EEiiiiiiiiiiiliiliiiiil.has_recursion, or(0, .L_ZL14no_device_codePKciS0_iS0_.has_recursion)
	.set _ZL18flash_attn_ext_vecILi64ELi1EL9ggml_type3ELS0_30ELb1EEvPKcS2_S2_S2_S2_PKiPfP15HIP_vector_typeIfLj2EEffffjfiS6_IjLj3EEiiiiiiiiiiiliiliiiiil.has_indirect_call, or(0, .L_ZL14no_device_codePKciS0_iS0_.has_indirect_call)
	.section	.AMDGPU.csdata,"",@progbits
; Kernel info:
; codeLenInByte = 40
; TotalNumSgprs: 40
; NumVgprs: 52
; NumAgprs: 0
; TotalNumVgprs: 52
; ScratchSize: 16
; MemoryBound: 0
; FloatMode: 240
; IeeeMode: 1
; LDSByteSize: 0 bytes/workgroup (compile time only)
; SGPRBlocks: 4
; VGPRBlocks: 6
; NumSGPRsForWavesPerEU: 40
; NumVGPRsForWavesPerEU: 52
; AccumOffset: 52
; Occupancy: 8
; WaveLimiterHint : 1
; COMPUTE_PGM_RSRC2:SCRATCH_EN: 1
; COMPUTE_PGM_RSRC2:USER_SGPR: 2
; COMPUTE_PGM_RSRC2:TRAP_HANDLER: 0
; COMPUTE_PGM_RSRC2:TGID_X_EN: 1
; COMPUTE_PGM_RSRC2:TGID_Y_EN: 0
; COMPUTE_PGM_RSRC2:TGID_Z_EN: 0
; COMPUTE_PGM_RSRC2:TIDIG_COMP_CNT: 0
; COMPUTE_PGM_RSRC3_GFX90A:ACCUM_OFFSET: 12
; COMPUTE_PGM_RSRC3_GFX90A:TG_SPLIT: 0
	.section	.text._ZL18flash_attn_ext_vecILi64ELi2EL9ggml_type3ELS0_30ELb0EEvPKcS2_S2_S2_S2_PKiPfP15HIP_vector_typeIfLj2EEffffjfiS6_IjLj3EEiiiiiiiiiiiliiliiiiil,"axG",@progbits,_ZL18flash_attn_ext_vecILi64ELi2EL9ggml_type3ELS0_30ELb0EEvPKcS2_S2_S2_S2_PKiPfP15HIP_vector_typeIfLj2EEffffjfiS6_IjLj3EEiiiiiiiiiiiliiliiiiil,comdat
	.globl	_ZL18flash_attn_ext_vecILi64ELi2EL9ggml_type3ELS0_30ELb0EEvPKcS2_S2_S2_S2_PKiPfP15HIP_vector_typeIfLj2EEffffjfiS6_IjLj3EEiiiiiiiiiiiliiliiiiil ; -- Begin function _ZL18flash_attn_ext_vecILi64ELi2EL9ggml_type3ELS0_30ELb0EEvPKcS2_S2_S2_S2_PKiPfP15HIP_vector_typeIfLj2EEffffjfiS6_IjLj3EEiiiiiiiiiiiliiliiiiil
	.p2align	8
	.type	_ZL18flash_attn_ext_vecILi64ELi2EL9ggml_type3ELS0_30ELb0EEvPKcS2_S2_S2_S2_PKiPfP15HIP_vector_typeIfLj2EEffffjfiS6_IjLj3EEiiiiiiiiiiiliiliiiiil,@function
_ZL18flash_attn_ext_vecILi64ELi2EL9ggml_type3ELS0_30ELb0EEvPKcS2_S2_S2_S2_PKiPfP15HIP_vector_typeIfLj2EEffffjfiS6_IjLj3EEiiiiiiiiiiiliiliiiiil: ; @_ZL18flash_attn_ext_vecILi64ELi2EL9ggml_type3ELS0_30ELb0EEvPKcS2_S2_S2_S2_PKiPfP15HIP_vector_typeIfLj2EEffffjfiS6_IjLj3EEiiiiiiiiiiiliiliiiiil
; %bb.0:
	s_load_dwordx2 s[34:35], s[2:3], 0x64
	s_load_dwordx2 s[54:55], s[2:3], 0x80
	;; [unrolled: 1-line block ×3, first 2 shown]
	v_mov_b32_e32 v76, 1.0
	s_waitcnt lgkmcnt(0)
	v_cvt_f32_u32_e32 v1, s35
	s_sub_i32 s7, 0, s35
	v_rcp_iflag_f32_e32 v1, v1
	s_nop 0
	v_mul_f32_e32 v1, 0x4f7ffffe, v1
	v_cvt_u32_f32_e32 v1, v1
	s_nop 0
	v_readfirstlane_b32 s8, v1
	s_mul_i32 s7, s7, s8
	s_mul_hi_u32 s7, s8, s7
	s_add_i32 s8, s8, s7
	s_mul_hi_u32 s7, s6, s8
	s_mul_i32 s8, s7, s35
	s_sub_i32 s8, s6, s8
	s_add_i32 s9, s7, 1
	s_sub_i32 s12, s8, s35
	s_cmp_ge_u32 s8, s35
	s_cselect_b32 s7, s9, s7
	s_cselect_b32 s8, s12, s8
	s_add_i32 s9, s7, 1
	s_cmp_ge_u32 s8, s35
	s_cselect_b32 s64, s9, s7
	s_abs_i32 s7, s55
	v_cvt_f32_u32_e32 v1, s7
	s_mul_i32 s12, s64, s35
	s_sub_i32 s13, 0, s7
	s_sub_i32 s36, s6, s12
	v_rcp_iflag_f32_e32 v1, v1
	s_abs_i32 s9, s35
	s_xor_b32 s8, s35, s55
	s_ashr_i32 s8, s8, 31
	v_mul_f32_e32 v1, 0x4f7ffffe, v1
	v_cvt_u32_f32_e32 v1, v1
	s_nop 0
	v_readfirstlane_b32 s6, v1
	s_mul_i32 s13, s13, s6
	s_mul_hi_u32 s12, s6, s13
	s_add_i32 s6, s6, s12
	s_mul_hi_u32 s6, s9, s6
	s_mul_i32 s12, s6, s7
	s_sub_i32 s9, s9, s12
	s_add_i32 s13, s6, 1
	s_sub_i32 s12, s9, s7
	s_cmp_ge_u32 s9, s7
	s_cselect_b32 s6, s13, s6
	s_cselect_b32 s9, s12, s9
	s_add_i32 s12, s6, 1
	s_cmp_ge_u32 s9, s7
	s_cselect_b32 s6, s12, s6
	s_xor_b32 s6, s6, s8
	s_sub_i32 s41, s6, s8
	s_abs_i32 s10, s10
	s_abs_i32 s40, s41
	v_cvt_f32_u32_e32 v1, s10
	v_cvt_f32_u32_e32 v2, s40
	s_load_dwordx4 s[12:15], s[2:3], 0x40
	s_load_dword s6, s[2:3], 0x50
	v_rcp_iflag_f32_e32 v1, v1
	v_rcp_iflag_f32_e32 v2, v2
	s_waitcnt lgkmcnt(0)
	v_cmp_le_f32_e64 s[8:9], s13, 0
	s_and_b64 vcc, exec, s[8:9]
	v_mul_f32_e32 v1, 0x4f7ffffe, v1
	v_mul_f32_e32 v2, 0x4f7ffffe, v2
	v_cvt_u32_f32_e32 v1, v1
	v_cvt_u32_f32_e32 v2, v2
	v_readfirstlane_b32 s13, v1
	v_readfirstlane_b32 s42, v2
	s_cbranch_vccnz .LBB9_2
; %bb.1:
	v_mov_b32_e32 v1, s6
	v_sub_co_u32_e32 v1, vcc, s36, v1
	v_mov_b32_e32 v2, s15
	v_mov_b32_e32 v3, s14
	s_add_i32 s6, s36, 1
	v_lshlrev_b32_e32 v1, 1, v1
	v_cndmask_b32_e32 v2, v2, v3, vcc
	v_or_b32_e32 v1, 1, v1
	v_mov_b32_e32 v3, s6
	v_cndmask_b32_e32 v1, v1, v3, vcc
	v_cvt_f32_i32_e32 v1, v1
	v_cmp_neq_f32_e32 vcc, 1.0, v2
	s_mov_b32 s6, 0x3f2aaaab
	s_movk_i32 s8, 0x204
	v_cndmask_b32_e32 v1, 1.0, v1, vcc
	v_cmp_neq_f32_e32 vcc, 0, v1
	s_mov_b32 s7, 0x42b17218
	s_mov_b32 s9, 0x3fb8aa3b
	v_cndmask_b32_e32 v18, 1.0, v2, vcc
	v_frexp_mant_f32_e64 v2, |v18|
	v_cmp_gt_f32_e32 vcc, s6, v2
	s_mov_b32 s6, 0x3f317218
	s_brev_b32 s16, -2
	v_cndmask_b32_e64 v3, 1.0, 2.0, vcc
	v_mul_f32_e32 v2, v2, v3
	v_add_f32_e32 v5, 1.0, v2
	v_rcp_f32_e32 v10, v5
	v_add_f32_e32 v3, -1.0, v5
	v_sub_f32_e32 v7, v2, v3
	v_add_f32_e32 v3, -1.0, v2
	v_mul_f32_e32 v11, v3, v10
	v_mul_f32_e32 v4, v5, v11
	v_fma_f32 v6, v11, v5, -v4
	v_fmac_f32_e32 v6, v11, v7
	v_add_f32_e32 v2, v4, v6
	v_sub_f32_e32 v5, v3, v2
	v_pk_add_f32 v[8:9], v[2:3], v[4:5] neg_lo:[0,1] neg_hi:[0,1]
	v_mov_b32_e32 v7, v2
	v_pk_add_f32 v[2:3], v[8:9], v[6:7] neg_lo:[0,1] neg_hi:[0,1]
	v_mov_b32_e32 v6, 0x3e91f4c4
	v_add_f32_e32 v2, v2, v3
	v_add_f32_e32 v2, v5, v2
	v_mul_f32_e32 v3, v10, v2
	v_add_f32_e32 v2, v11, v3
	v_sub_f32_e32 v4, v2, v11
	v_sub_f32_e32 v12, v3, v4
	v_mul_f32_e32 v3, v2, v2
	v_fma_f32 v5, v2, v2, -v3
	v_add_f32_e32 v4, v12, v12
	v_fmac_f32_e32 v5, v2, v4
	v_add_f32_e32 v4, v3, v5
	v_fmac_f32_e32 v6, 0x3e76c4e1, v4
	v_fmaak_f32 v6, v4, v6, 0x3ecccdef
	v_sub_f32_e32 v3, v4, v3
	v_sub_f32_e32 v13, v5, v3
	v_mul_f32_e32 v3, v4, v6
	v_fma_f32 v5, v4, v6, -v3
	v_fmac_f32_e32 v5, v13, v6
	v_add_f32_e32 v6, v3, v5
	v_add_f32_e32 v7, 0x3f2aaaaa, v6
	v_sub_f32_e32 v3, v6, v3
	v_sub_f32_e32 v3, v5, v3
	v_add_f32_e32 v5, 0xbf2aaaaa, v7
	v_add_f32_e32 v3, 0x31739010, v3
	v_sub_f32_e32 v5, v6, v5
	v_pk_mul_f32 v[8:9], v[2:3], v[4:5]
	v_pk_add_f32 v[10:11], v[2:3], v[4:5]
	v_fma_f32 v6, v4, v2, -v8
	v_fmac_f32_e32 v6, v4, v12
	v_mov_b32_e32 v9, v11
	v_fmac_f32_e32 v6, v13, v2
	v_pk_add_f32 v[4:5], v[8:9], v[6:7]
	v_ldexp_f32 v14, v12, 1
	v_sub_f32_e32 v3, v4, v8
	v_sub_f32_e32 v3, v6, v3
	v_sub_f32_e32 v6, v7, v5
	v_add_f32_e32 v9, v11, v6
	v_pk_mul_f32 v[6:7], v[4:5], v[4:5] op_sel:[0,1] op_sel_hi:[1,0]
	v_cvt_f64_f32_e64 v[10:11], |v18|
	v_frexp_exp_i32_f64_e32 v7, v[10:11]
	v_subbrev_co_u32_e32 v7, vcc, 0, v7, vcc
	v_cvt_f32_i32_e32 v7, v7
	v_fma_f32 v8, v4, v5, -v6
	v_fmac_f32_e32 v8, v4, v9
	v_fmac_f32_e32 v8, v3, v5
	v_mul_f32_e32 v4, 0x3f317218, v7
	v_fma_f32 v3, v7, s6, -v4
	v_fmamk_f32 v10, v7, 0xb102e308, v3
	v_ldexp_f32 v11, v2, 1
	v_add_f32_e32 v5, v6, v8
	v_pk_add_f32 v[2:3], v[4:5], v[10:11]
	v_mov_b32_e32 v12, v5
	v_mov_b32_e32 v13, v3
	;; [unrolled: 1-line block ×3, first 2 shown]
	v_pk_add_f32 v[6:7], v[12:13], v[6:7] neg_lo:[0,1] neg_hi:[0,1]
	v_mov_b32_e32 v9, v5
	v_pk_add_f32 v[6:7], v[8:9], v[6:7] neg_lo:[0,1] neg_hi:[0,1]
	v_mov_b32_e32 v11, v2
	v_add_f32_e32 v5, v14, v6
	v_add_f32_e32 v5, v5, v7
	v_pk_add_f32 v[6:7], v[2:3], v[4:5] neg_lo:[0,1] neg_hi:[0,1]
	v_pk_add_f32 v[8:9], v[2:3], v[4:5]
	v_mov_b32_e32 v16, v3
	v_mov_b32_e32 v7, v9
	v_pk_add_f32 v[12:13], v[10:11], v[6:7] neg_lo:[0,1] neg_hi:[0,1]
	v_pk_add_f32 v[6:7], v[10:11], v[6:7]
	v_mov_b32_e32 v4, v5
	v_pk_add_f32 v[10:11], v[6:7], v[2:3] op_sel:[1,0] op_sel_hi:[0,1] neg_lo:[0,1] neg_hi:[0,1]
	v_pk_add_f32 v[14:15], v[8:9], v[10:11] op_sel_hi:[1,0] neg_lo:[0,1] neg_hi:[0,1]
	v_mov_b32_e32 v8, v9
	v_mov_b32_e32 v9, v7
	;; [unrolled: 1-line block ×3, first 2 shown]
	v_pk_add_f32 v[8:9], v[8:9], v[16:17] neg_lo:[0,1] neg_hi:[0,1]
	v_mov_b32_e32 v5, v2
	v_pk_add_f32 v[2:3], v[4:5], v[8:9] neg_lo:[0,1] neg_hi:[0,1]
	v_mov_b32_e32 v14, v12
	v_pk_add_f32 v[4:5], v[14:15], v[2:3]
	v_mov_b32_e32 v13, v7
	v_pk_add_f32 v[8:9], v[4:5], v[4:5] op_sel:[0,1] op_sel_hi:[1,0]
	s_mov_b32 s6, 0x7f800000
	v_pk_add_f32 v[6:7], v[6:7], v[8:9] op_sel:[1,0] op_sel_hi:[0,1]
	v_mov_b32_e32 v5, v6
	v_pk_add_f32 v[10:11], v[4:5], v[12:13] neg_lo:[0,1] neg_hi:[0,1]
	v_mov_b32_e32 v3, v8
	v_sub_f32_e32 v4, v4, v10
	v_pk_add_f32 v[2:3], v[2:3], v[10:11] neg_lo:[0,1] neg_hi:[0,1]
	v_sub_f32_e32 v4, v12, v4
	v_add_f32_e32 v2, v2, v4
	v_add_f32_e32 v2, v2, v3
	;; [unrolled: 1-line block ×3, first 2 shown]
	v_sub_f32_e32 v4, v3, v6
	v_sub_f32_e32 v2, v2, v4
	v_mul_f32_e32 v4, v1, v3
	v_fma_f32 v3, v1, v3, -v4
	v_fmac_f32_e32 v3, v1, v2
	v_add_f32_e32 v2, v4, v3
	v_cmp_class_f32_e64 vcc, v4, s8
	v_sub_f32_e32 v5, v2, v4
	v_sub_f32_e32 v3, v3, v5
	v_cndmask_b32_e32 v2, v2, v4, vcc
	v_mov_b32_e32 v4, 0x37000000
	v_cmp_eq_f32_e32 vcc, s7, v2
	v_cmp_class_f32_e64 s[14:15], v18, s8
	s_nop 0
	v_cndmask_b32_e32 v4, 0, v4, vcc
	v_sub_f32_e32 v5, v2, v4
	v_mul_f32_e32 v6, 0x3fb8aa3b, v5
	v_fma_f32 v7, v5, s9, -v6
	v_rndne_f32_e32 v8, v6
	v_fmamk_f32 v7, v5, 0x32a5705f, v7
	v_sub_f32_e32 v6, v6, v8
	v_add_f32_e32 v6, v6, v7
	v_exp_f32_e32 v6, v6
	v_cvt_i32_f32_e32 v7, v8
	v_cmp_neq_f32_e64 vcc, |v2|, s6
	s_mov_b32 s6, 0xc2ce8ed0
	s_nop 0
	v_cndmask_b32_e32 v2, 0, v3, vcc
	v_ldexp_f32 v3, v6, v7
	v_cmp_ngt_f32_e32 vcc, s6, v5
	v_add_f32_e32 v2, v4, v2
	v_mov_b32_e32 v4, 0x7f800000
	v_cndmask_b32_e32 v3, 0, v3, vcc
	v_cmp_nlt_f32_e32 vcc, s7, v5
	v_mov_b32_e32 v5, 0x7fc00000
	s_nop 0
	v_cndmask_b32_e32 v3, v4, v3, vcc
	v_fma_f32 v2, v3, v2, v3
	v_cmp_class_f32_e64 vcc, v3, s8
	v_cmp_gt_f32_e64 s[8:9], 0, v1
	s_nop 0
	v_cndmask_b32_e32 v2, v2, v3, vcc
	v_trunc_f32_e32 v3, v1
	v_cmp_eq_f32_e32 vcc, v3, v1
	v_mul_f32_e32 v3, 0.5, v1
	v_trunc_f32_e32 v6, v3
	v_cmp_neq_f32_e64 s[6:7], v6, v3
	s_and_b64 s[6:7], vcc, s[6:7]
	s_nop 0
	v_cndmask_b32_e64 v3, 1.0, v18, s[6:7]
	v_bfi_b32 v2, s16, v2, v3
	v_cndmask_b32_e32 v3, v5, v2, vcc
	v_cmp_gt_f32_e32 vcc, 0, v18
	s_nop 1
	v_cndmask_b32_e32 v2, v2, v3, vcc
	v_cmp_eq_f32_e32 vcc, 0, v18
	s_xor_b64 s[8:9], s[8:9], vcc
	v_cndmask_b32_e64 v1, v4, 0, s[8:9]
	v_cndmask_b32_e64 v3, 0, v18, s[6:7]
	v_bfi_b32 v1, s16, v1, v3
	s_or_b64 vcc, vcc, s[14:15]
	v_cndmask_b32_e32 v1, v2, v1, vcc
	v_cmp_o_f32_e32 vcc, v18, v18
	s_nop 1
	v_cndmask_b32_e32 v76, v5, v1, vcc
.LBB9_2:
	s_load_dwordx2 s[6:7], s[0:1], 0x4
	s_load_dwordx16 s[16:31], s[2:3], 0x0
	v_bfe_u32 v72, v0, 10, 10
	v_and_b32_e32 v70, 0x3ff, v0
	v_bfe_u32 v0, v0, 20, 10
	s_waitcnt lgkmcnt(0)
	s_lshr_b32 s0, s6, 16
	v_mul_u32_u24_e32 v1, s7, v72
	s_mul_i32 s0, s0, s7
	v_mad_u32_u24 v1, s0, v70, v1
	v_add_lshl_u32 v8, v1, v0, 5
	v_mov_b32_e32 v17, 0
	v_add_u32_e32 v0, 0xa04, v8
	ds_write2_b32 v0, v17, v17 offset1:1
	v_add_u32_e32 v0, 0xa0c, v8
	ds_write2_b32 v0, v17, v17 offset1:1
	v_add_u32_e32 v0, 0xa14, v8
	s_lshl_b32 s33, s4, 1
	ds_write2_b32 v0, v17, v17 offset1:1
	v_add_u32_e32 v0, 0x800, v8
	v_cmp_lt_u32_e64 s[0:1], 1, v72
	v_cmp_gt_u32_e32 vcc, 2, v72
	v_lshlrev_b32_e32 v75, 2, v70
	ds_write2_b32 v0, v17, v17 offset0:128 offset1:135
	s_and_saveexec_b64 s[8:9], vcc
	s_cbranch_execz .LBB9_23
; %bb.3:
	v_lshlrev_b32_e32 v5, 7, v72
	v_or_b32_e32 v0, s33, v72
	v_cmp_le_i32_e64 s[6:7], s34, v0
	v_cmp_gt_u32_e32 vcc, 16, v70
	v_add_u32_e32 v4, v5, v75
	s_and_saveexec_b64 s[14:15], s[6:7]
	s_xor_b64 s[14:15], exec, s[14:15]
	s_cbranch_execz .LBB9_9
; %bb.4:
	s_and_saveexec_b64 s[6:7], vcc
; %bb.5:
	v_mov_b32_e32 v0, 0
	ds_write_b32 v4, v0
; %bb.6:
	s_or_b64 exec, exec, s[6:7]
	v_cmp_gt_u32_e64 s[6:7], 2, v70
	s_and_saveexec_b64 s[38:39], s[6:7]
; %bb.7:
	v_mov_b32_e32 v2, 0
	v_add_u32_e32 v0, v4, v75
	v_mov_b32_e32 v3, v2
	ds_write_b64 v0, v[2:3] offset:64
; %bb.8:
	s_or_b64 exec, exec, s[38:39]
                                        ; implicit-def: $vgpr4
                                        ; implicit-def: $vgpr5
.LBB9_9:
	s_andn2_saveexec_b64 s[6:7], s[14:15]
	s_cbranch_execz .LBB9_23
; %bb.10:
	s_load_dwordx4 s[44:47], s[2:3], 0x70
	v_mov_b32_e32 v9, 0
	s_waitcnt lgkmcnt(0)
	s_mul_i32 s6, s64, s46
	s_mul_i32 s14, s44, s33
	;; [unrolled: 1-line block ×3, first 2 shown]
	s_add_i32 s6, s6, s14
	s_add_i32 s6, s6, s7
	s_ashr_i32 s7, s6, 31
	v_mul_lo_u32 v0, s44, v72
	s_add_u32 s6, s16, s6
	v_ashrrev_i32_e32 v1, 31, v0
	s_addc_u32 s7, s17, s7
	v_lshl_add_u64 v[2:3], s[6:7], 0, v[0:1]
	v_lshlrev_b32_e32 v0, 2, v75
	v_mov_b32_e32 v1, 0
	v_lshl_add_u64 v[2:3], v[2:3], 0, v[0:1]
	s_and_saveexec_b64 s[6:7], vcc
	s_cbranch_execz .LBB9_12
; %bb.11:
	global_load_dword v0, v[2:3], off
	s_waitcnt vmcnt(0)
	v_mul_f32_e32 v9, s12, v0
.LBB9_12:
	s_or_b64 exec, exec, s[6:7]
	s_and_saveexec_b64 s[6:7], vcc
	s_cbranch_execz .LBB9_14
; %bb.13:
	global_load_dword v0, v[2:3], off offset:4
	s_waitcnt vmcnt(0)
	v_mul_f32_e32 v1, s12, v0
.LBB9_14:
	s_or_b64 exec, exec, s[6:7]
	v_mov_b32_e32 v6, 0
	v_mov_b32_e32 v7, 0
	s_and_saveexec_b64 s[6:7], vcc
	s_cbranch_execz .LBB9_16
; %bb.15:
	global_load_dword v0, v[2:3], off offset:8
	s_waitcnt vmcnt(0)
	v_mul_f32_e32 v7, s12, v0
.LBB9_16:
	s_or_b64 exec, exec, s[6:7]
	s_and_saveexec_b64 s[6:7], vcc
	s_cbranch_execz .LBB9_18
; %bb.17:
	global_load_dword v0, v[2:3], off offset:12
	s_waitcnt vmcnt(0)
	v_mul_f32_e32 v6, s12, v0
.LBB9_18:
	s_or_b64 exec, exec, s[6:7]
	v_mbcnt_lo_u32_b32 v0, -1, 0
	v_mbcnt_hi_u32_b32 v0, -1, v0
	v_and_b32_e32 v2, 0x60, v0
	v_add_u32_e32 v2, 32, v2
	v_xor_b32_e32 v3, 4, v0
	v_cmp_lt_i32_e32 vcc, v3, v2
	v_max_f32_e64 v11, |v1|, |v1|
	v_max_f32_e64 v12, |v9|, |v9|
	v_cndmask_b32_e32 v3, v0, v3, vcc
	v_max_f32_e32 v11, v12, v11
	v_lshlrev_b32_e32 v3, 2, v3
	v_max3_f32 v11, v11, |v7|, |v6|
	ds_bpermute_b32 v12, v3, v11
	v_xor_b32_e32 v10, 2, v0
	v_cmp_lt_i32_e32 vcc, v10, v2
	v_xor_b32_e32 v13, 1, v0
	s_mov_b32 s12, 0x42fe0000
	v_cndmask_b32_e32 v10, v0, v10, vcc
	v_cmp_lt_i32_e32 vcc, v13, v2
	s_waitcnt lgkmcnt(0)
	v_max_f32_e32 v2, v12, v12
	v_lshlrev_b32_e32 v10, 2, v10
	v_max_f32_e32 v2, v11, v2
	ds_bpermute_b32 v11, v10, v2
	v_add_f32_e32 v12, v9, v1
	v_add_f32_e32 v12, v12, v7
	v_cndmask_b32_e32 v0, v0, v13, vcc
	v_add_f32_e32 v12, v12, v6
	s_waitcnt lgkmcnt(0)
	v_max_f32_e32 v11, v11, v11
	v_lshlrev_b32_e32 v0, 2, v0
	ds_bpermute_b32 v3, v3, v12
	v_max_f32_e32 v2, v2, v11
	ds_bpermute_b32 v11, v0, v2
	s_waitcnt lgkmcnt(1)
	v_add_f32_e32 v3, v12, v3
	ds_bpermute_b32 v12, v10, v3
	s_waitcnt lgkmcnt(1)
	v_max_f32_e32 v10, v11, v11
	v_max_f32_e32 v11, v2, v10
	v_div_scale_f32 v13, s[6:7], s12, s12, v11
	v_rcp_f32_e32 v14, v13
	s_waitcnt lgkmcnt(0)
	v_add_f32_e32 v2, v3, v12
	ds_bpermute_b32 v3, v0, v2
	v_mov_b32_e32 v10, 0
	v_fma_f32 v0, -v13, v14, 1.0
	v_fmac_f32_e32 v14, v0, v14
	v_div_scale_f32 v0, vcc, v11, s12, v11
	v_mul_f32_e32 v12, v0, v14
	v_fma_f32 v15, -v13, v12, v0
	v_fmac_f32_e32 v12, v15, v14
	v_fma_f32 v0, -v13, v12, v0
	v_div_fmas_f32 v0, v0, v14, v12
	v_div_fixup_f32 v0, v0, s12, v11
	v_cmp_neq_f32_e32 vcc, 0, v0
	s_and_saveexec_b64 s[6:7], vcc
	s_cbranch_execz .LBB9_20
; %bb.19:
	v_div_scale_f32 v10, s[14:15], v0, v0, v9
	v_rcp_f32_e32 v11, v10
	v_div_scale_f32 v12, vcc, v9, v0, v9
	s_brev_b32 s12, -2
	v_fma_f32 v13, -v10, v11, 1.0
	v_fmac_f32_e32 v11, v13, v11
	v_mul_f32_e32 v13, v12, v11
	v_fma_f32 v14, -v10, v13, v12
	v_fmac_f32_e32 v13, v14, v11
	v_fma_f32 v10, -v10, v13, v12
	v_div_fmas_f32 v10, v10, v11, v13
	v_div_fixup_f32 v9, v10, v0, v9
	v_trunc_f32_e32 v10, v9
	v_sub_f32_e32 v11, v9, v10
	v_cmp_ge_f32_e64 s[14:15], |v11|, 0.5
	s_nop 1
	v_cndmask_b32_e64 v11, 0, 1.0, s[14:15]
	v_div_scale_f32 v12, s[14:15], v0, v0, v1
	v_rcp_f32_e32 v13, v12
	v_bfi_b32 v9, s12, v11, v9
	v_add_f32_e32 v9, v10, v9
	v_cvt_i32_f32_e32 v9, v9
	v_fma_f32 v10, -v12, v13, 1.0
	v_fmac_f32_e32 v13, v10, v13
	v_div_scale_f32 v10, vcc, v1, v0, v1
	v_mul_f32_e32 v11, v10, v13
	v_fma_f32 v14, -v12, v11, v10
	v_fmac_f32_e32 v11, v14, v13
	v_fma_f32 v10, -v12, v11, v10
	v_div_fmas_f32 v10, v10, v13, v11
	v_div_fixup_f32 v1, v10, v0, v1
	v_trunc_f32_e32 v10, v1
	v_div_scale_f32 v12, s[14:15], v0, v0, v7
	v_sub_f32_e32 v11, v1, v10
	v_rcp_f32_e32 v13, v12
	v_cmp_ge_f32_e64 s[14:15], |v11|, 0.5
	s_nop 1
	v_cndmask_b32_e64 v11, 0, 1.0, s[14:15]
	v_bfi_b32 v1, s12, v11, v1
	v_add_f32_e32 v1, v10, v1
	v_fma_f32 v10, -v12, v13, 1.0
	v_fmac_f32_e32 v13, v10, v13
	v_div_scale_f32 v10, vcc, v7, v0, v7
	v_mul_f32_e32 v11, v10, v13
	v_fma_f32 v14, -v12, v11, v10
	v_fmac_f32_e32 v11, v14, v13
	v_fma_f32 v10, -v12, v11, v10
	v_div_fmas_f32 v10, v10, v13, v11
	v_div_fixup_f32 v7, v10, v0, v7
	v_trunc_f32_e32 v10, v7
	v_sub_f32_e32 v11, v7, v10
	v_cmp_ge_f32_e64 s[14:15], |v11|, 0.5
	v_cvt_i32_f32_e32 v1, v1
	s_nop 0
	v_cndmask_b32_e64 v11, 0, 1.0, s[14:15]
	v_div_scale_f32 v12, s[14:15], v0, v0, v6
	v_rcp_f32_e32 v13, v12
	v_bfi_b32 v7, s12, v11, v7
	v_add_f32_e32 v7, v10, v7
	v_cvt_i32_f32_e32 v7, v7
	v_fma_f32 v10, -v12, v13, 1.0
	v_fmac_f32_e32 v13, v10, v13
	v_div_scale_f32 v10, vcc, v6, v0, v6
	v_mul_f32_e32 v11, v10, v13
	v_fma_f32 v14, -v12, v11, v10
	v_fmac_f32_e32 v11, v14, v13
	v_fma_f32 v10, -v12, v11, v10
	v_div_fmas_f32 v10, v10, v13, v11
	v_div_fixup_f32 v6, v10, v0, v6
	v_trunc_f32_e32 v10, v6
	v_sub_f32_e32 v11, v6, v10
	v_cmp_ge_f32_e64 s[14:15], |v11|, 0.5
	v_and_b32_e32 v7, 0xff, v7
	v_lshlrev_b32_e32 v7, 16, v7
	v_cndmask_b32_e64 v11, 0, 1.0, s[14:15]
	v_bfi_b32 v6, s12, v11, v6
	v_add_f32_e32 v6, v10, v6
	v_cvt_i32_f32_e32 v6, v6
	v_lshl_or_b32 v6, v6, 24, v7
	v_mov_b32_e32 v7, 8
	v_lshlrev_b32_sdwa v1, v7, v1 dst_sel:DWORD dst_unused:UNUSED_PAD src0_sel:DWORD src1_sel:BYTE_0
	v_and_b32_e32 v7, 0xff, v9
	v_or3_b32 v10, v6, v1, v7
.LBB9_20:
	s_or_b64 exec, exec, s[6:7]
	v_and_b32_e32 v1, 0x77, v70
	v_cmp_eq_u32_e32 vcc, 0, v1
	ds_write_b32 v4, v10
	s_and_saveexec_b64 s[6:7], vcc
	s_cbranch_execz .LBB9_22
; %bb.21:
	s_waitcnt lgkmcnt(1)
	v_add_f32_e32 v1, v2, v3
	v_add_u32_e32 v2, v5, v70
	ds_write_b64 v2, v[0:1] offset:64
.LBB9_22:
	s_or_b64 exec, exec, s[6:7]
.LBB9_23:
	s_or_b64 exec, exec, s[8:9]
	v_and_b32_e32 v9, 3, v70
	v_lshlrev_b32_e32 v10, 2, v9
	s_waitcnt lgkmcnt(0)
	s_barrier
	ds_read2_b32 v[18:19], v10 offset1:4
	ds_read2_b32 v[20:21], v10 offset0:8 offset1:12
	ds_read2_b32 v[22:23], v10 offset0:32 offset1:36
	ds_read_b128 v[0:3], v17 offset:64
	ds_read_b128 v[4:7], v17 offset:192
	ds_read2_b32 v[24:25], v10 offset0:40 offset1:44
	s_cmp_eq_u64 s[26:27], 0
	s_mov_b32 s37, s54
	s_waitcnt lgkmcnt(0)
	s_barrier
	s_cbranch_scc1 .LBB9_25
; %bb.24:
	s_load_dword s6, s[2:3], 0xd0
	s_mov_b32 s7, 0
	s_waitcnt lgkmcnt(0)
	s_mul_i32 s6, s6, s64
	s_add_i32 s6, s6, s4
	s_lshl_b64 s[6:7], s[6:7], 2
	s_add_u32 s6, s26, s6
	s_addc_u32 s7, s27, s7
	s_load_dword s37, s[6:7], 0x0
.LBB9_25:
	v_add_u32_e32 v74, 0xa00, v8
	v_lshlrev_b32_e32 v8, 5, v72
	v_add_u32_e32 v71, v8, v70
	s_lshl_b32 s26, s5, 7
	s_waitcnt lgkmcnt(0)
	s_cmp_ge_i32 s26, s37
	v_mbcnt_lo_u32_b32 v77, -1, 0
	v_lshlrev_b32_e32 v73, 1, v71
	s_cbranch_scc1 .LBB9_45
; %bb.26:
	s_sub_i32 s6, 0, s10
	s_mul_i32 s6, s6, s13
	s_mul_hi_u32 s6, s13, s6
	s_abs_i32 s9, s64
	s_add_i32 s13, s13, s6
	s_sub_i32 s4, 0, s40
	s_mul_hi_u32 s17, s9, s13
	s_load_dwordx2 s[62:63], s[2:3], 0x8c
	s_load_dwordx4 s[12:15], s[2:3], 0x98
	s_mul_i32 s4, s4, s42
	s_mul_hi_u32 s4, s42, s4
	s_abs_i32 s8, s36
	s_add_i32 s42, s42, s4
	s_mul_hi_u32 s16, s8, s42
	s_ashr_i32 s27, s36, 31
	s_ashr_i32 s38, s41, 31
	;; [unrolled: 1-line block ×3, first 2 shown]
	s_waitcnt lgkmcnt(0)
	s_mul_i32 s13, s13, s64
	s_mul_i32 s41, s12, s4
	s_xor_b32 s27, s27, s38
	s_mul_i32 s38, s16, s40
	s_mul_hi_u32 s39, s12, s64
	s_add_i32 s66, s41, s13
	s_sub_i32 s8, s8, s38
	s_add_i32 s13, s66, s39
	s_add_i32 s38, s16, 1
	s_sub_i32 s39, s8, s40
	s_cmp_ge_u32 s8, s40
	s_cselect_b32 s16, s38, s16
	s_cselect_b32 s8, s39, s8
	s_add_i32 s38, s16, 1
	s_cmp_ge_u32 s8, s40
	s_cselect_b32 s8, s38, s16
	s_xor_b32 s8, s8, s27
	s_sub_i32 s8, s8, s27
	s_mul_i32 s17, s17, s10
	s_mul_i32 s58, s8, s63
	s_mul_i32 s56, s8, s15
	s_sub_i32 s8, s9, s17
	s_ashr_i32 s59, s58, 31
	s_ashr_i32 s57, s56, 31
	s_sub_i32 s9, s8, s10
	s_cmp_ge_u32 s8, s10
	s_cselect_b32 s8, s9, s8
	s_sub_i32 s9, s8, s10
	s_load_dwordx2 s[6:7], s[2:3], 0xc8
	s_cmp_ge_u32 s8, s10
	s_cselect_b32 s8, s9, s8
	s_xor_b32 s8, s8, s4
	s_sub_i32 s8, s8, s4
	s_ashr_i32 s9, s8, 31
	s_load_dword s10, s[2:3], 0xd4
	s_load_dwordx2 s[60:61], s[2:3], 0xa8
	s_waitcnt lgkmcnt(0)
	s_mul_i32 s9, s6, s9
	s_mul_hi_u32 s15, s6, s8
	s_add_i32 s9, s15, s9
	s_mul_i32 s7, s7, s8
	s_mul_i32 s38, s11, s33
	v_mbcnt_hi_u32_b32 v11, -1, v77
	s_add_i32 s15, s9, s7
	s_ashr_i32 s39, s38, 31
	v_and_b32_e32 v12, 0x7c, v11
	v_add_u32_e32 v12, 4, v12
	v_xor_b32_e32 v13, 2, v11
	s_cmp_lg_u64 s[22:23], 0
	s_mul_i32 s72, s6, s8
	v_cmp_lt_i32_e32 vcc, v13, v12
	s_cselect_b64 s[6:7], -1, 0
	s_lshl_b32 s44, s10, 7
	v_cndmask_b32_e32 v13, v11, v13, vcc
	s_cmp_lt_i32 s33, s34
	v_lshlrev_b32_e32 v78, 2, v13
	v_xor_b32_e32 v13, 1, v11
	s_cselect_b64 s[8:9], -1, 0
	v_cmp_lt_i32_e32 vcc, v13, v12
	s_and_b64 s[50:51], s[6:7], s[8:9]
	s_or_b32 s8, s33, 1
	v_cndmask_b32_e32 v12, v11, v13, vcc
	s_cmp_lt_i32 s8, s34
	v_lshlrev_b32_e32 v79, 2, v12
	v_and_b32_e32 v12, 0x60, v11
	s_cselect_b64 s[8:9], -1, 0
	v_add_u32_e32 v26, 32, v12
	v_cmp_eq_u32_e64 s[16:17], 0, v9
	s_and_b64 s[52:53], s[6:7], s[8:9]
	v_cmp_eq_u32_e64 s[6:7], 1, v9
	v_cmp_eq_u32_e64 s[8:9], 2, v9
	;; [unrolled: 1-line block ×3, first 2 shown]
	v_xor_b32_e32 v9, 4, v11
	v_cmp_lt_i32_e32 vcc, v9, v26
	v_and_b32_e32 v10, 0x7c, v70
	v_add_u32_e32 v10, v8, v10
	v_cndmask_b32_e32 v9, v11, v9, vcc
	v_lshlrev_b32_e32 v80, 2, v9
	v_xor_b32_e32 v9, 8, v11
	v_cmp_lt_i32_e32 vcc, v9, v26
	v_mul_lo_u32 v12, v10, s62
	v_add_u32_e32 v40, s62, v12
	v_cndmask_b32_e32 v9, v11, v9, vcc
	v_lshlrev_b32_e32 v81, 2, v9
	v_xor_b32_e32 v9, 16, v11
	v_cmp_lt_i32_e32 vcc, v9, v26
	v_mov_b32_e32 v17, 0
	v_lshrrev_b32_e32 v27, 3, v70
	v_add_u32_e32 v34, s62, v40
	v_cndmask_b32_e32 v9, v11, v9, vcc
	s_ashr_i32 s55, s54, 31
	s_mul_i32 s42, s62, s26
	v_and_b32_e32 v16, 12, v75
	s_mul_i32 s46, s44, s62
	v_add_u32_e32 v28, s62, v34
	v_lshlrev_b32_e32 v82, 2, v9
	v_or_b32_e32 v9, v8, v27
	v_mov_b32_e32 v11, v17
	v_mov_b32_e32 v48, s64
	s_add_u32 s62, s18, s58
	s_mul_i32 s65, s12, s64
	v_add_u32_e32 v14, s54, v10
	v_lshlrev_b32_e32 v83, 1, v9
	v_add_u32_e32 v62, v8, v27
	v_lshl_add_u64 v[8:9], s[54:55], 0, v[10:11]
	v_mad_u64_u32 v[42:43], s[54:55], s12, v48, v[16:17]
	s_addc_u32 s63, s19, s59
	s_mov_b32 s27, 0
	v_add_u32_e32 v43, s66, v43
	s_add_u32 s66, s62, s65
	s_addc_u32 s67, s63, s13
	s_lshl_b64 s[68:69], s[26:27], 1
	s_add_u32 s12, s22, s68
	s_mov_b32 s41, s27
	s_mov_b32 s43, s27
	;; [unrolled: 1-line block ×5, first 2 shown]
	s_addc_u32 s27, s23, s69
	s_add_u32 s70, s12, s72
	s_addc_u32 s71, s27, s15
	s_lshl_b64 s[54:55], s[44:45], 1
	s_add_u32 s12, s72, s68
	s_addc_u32 s15, s15, s69
	s_add_u32 s22, s22, s12
	s_addc_u32 s23, s23, s15
	;; [unrolled: 2-line block ×3, first 2 shown]
	s_add_u32 s12, s18, s12
	v_ashrrev_i32_e32 v13, 31, v12
	s_addc_u32 s13, s19, s13
	v_lshl_add_u64 v[44:45], v[8:9], 1, s[70:71]
	v_lshl_add_u64 v[8:9], s[12:13], 0, v[12:13]
	v_lshlrev_b32_e32 v16, 1, v10
	v_lshl_add_u64 v[46:47], v[8:9], 0, 20
	v_and_b32_e32 v8, 7, v70
	v_lshl_add_u64 v[38:39], s[22:23], 0, v[16:17]
	v_lshlrev_b32_e32 v16, 4, v8
	s_mul_i32 s12, s61, s64
	s_mul_i32 s4, s60, s4
	v_lshl_add_u64 v[10:11], v[42:43], 0, s[58:59]
	s_add_i32 s4, s4, s12
	v_mad_u64_u32 v[8:9], s[12:13], s60, v48, v[16:17]
	v_ashrrev_i32_e32 v15, 31, v14
	v_ashrrev_i32_e32 v41, 31, v40
	;; [unrolled: 1-line block ×4, first 2 shown]
	v_lshl_add_u64 v[10:11], v[10:11], 0, v[12:13]
	v_add_u32_e32 v9, s4, v9
	v_mul_lo_u32 v12, s14, v62
	v_lshl_add_u64 v[26:27], v[42:43], 0, v[28:29]
	v_lshl_add_u64 v[30:31], v[42:43], 0, v[34:35]
	;; [unrolled: 1-line block ×6, first 2 shown]
	v_ashrrev_i32_e32 v13, 31, v12
	v_lshl_add_u64 v[10:11], v[10:11], 0, v[12:13]
	v_lshl_add_u64 v[48:49], s[20:21], 0, v[10:11]
	v_add_u32_e32 v10, 28, v62
	v_mul_lo_u32 v10, s14, v10
	v_ashrrev_i32_e32 v11, 31, v10
	s_add_u32 s12, s20, s56
	v_lshl_add_u64 v[10:11], v[8:9], 0, v[10:11]
	s_addc_u32 s13, s21, s57
	v_lshl_add_u64 v[50:51], s[12:13], 0, v[10:11]
	v_add_u32_e32 v10, 4, v62
	v_mul_lo_u32 v10, s14, v10
	v_ashrrev_i32_e32 v11, 31, v10
	v_lshl_add_u64 v[10:11], v[8:9], 0, v[10:11]
	v_lshl_add_u64 v[52:53], s[12:13], 0, v[10:11]
	v_add_u32_e32 v10, 24, v62
	v_mul_lo_u32 v10, s14, v10
	v_ashrrev_i32_e32 v11, 31, v10
	v_lshl_add_u64 v[10:11], v[8:9], 0, v[10:11]
	;; [unrolled: 5-line block ×6, first 2 shown]
	v_lshlrev_b32_e32 v84, 1, v62
	v_lshl_add_u64 v[36:37], s[62:63], 0, v[14:15]
	v_lshl_add_u64 v[62:63], s[12:13], 0, v[8:9]
	ds_read_b128 v[12:15], v74
	ds_read_b128 v[8:11], v74 offset:16
	s_mul_i32 s40, s14, s26
	s_mul_i32 s48, s44, s14
	v_lshl_add_u64 v[26:27], s[62:63], 0, v[26:27]
	v_lshl_add_u64 v[28:29], s[66:67], 0, v[28:29]
	;; [unrolled: 1-line block ×5, first 2 shown]
	v_mov_b32_e32 v87, 0xfeffffff
	s_mov_b32 s4, 0x3fb8aa3b
	s_mov_b32 s18, 0xc2ce8ed0
	;; [unrolled: 1-line block ×3, first 2 shown]
	v_mov_b32_e32 v85, 0x7f800000
	v_mov_b32_e32 v16, v17
	v_mov_b32_e32 v86, 0xfeffffff
	v_mov_b32_e32 v66, v17
	v_mov_b32_e32 v67, v17
.LBB9_27:                               ; =>This Inner Loop Header: Depth=1
	v_lshl_add_u64 v[68:69], v[42:43], 0, s[42:43]
	v_lshl_add_u64 v[64:65], v[46:47], 0, s[42:43]
	global_load_dword v88, v[68:69], off offset:4
	global_load_dword v89, v[64:65], off offset:-20
	global_load_dword v90, v[68:69], off offset:24
	global_load_dword v94, v[64:65], off
	v_mov_b32_e32 v64, 0
	v_mov_b32_e32 v65, 0
	;; [unrolled: 1-line block ×4, first 2 shown]
	s_and_b64 vcc, exec, s[50:51]
	s_waitcnt vmcnt(3)
	v_and_b32_e32 v93, 0xf0f0f0f, v88
	v_lshrrev_b32_e32 v88, 4, v88
	s_waitcnt vmcnt(2)
	v_cvt_f32_f16_sdwa v92, v89 dst_sel:DWORD dst_unused:UNUSED_PAD src0_sel:WORD_1
	s_waitcnt vmcnt(0)
	v_cvt_f32_f16_e32 v68, v94
	v_cvt_f32_f16_sdwa v69, v94 dst_sel:DWORD dst_unused:UNUSED_PAD src0_sel:WORD_1
	v_and_b32_e32 v94, 0xf0f0f0f, v88
	v_cvt_f32_f16_e32 v91, v89
	v_and_b32_e32 v89, 0xf0f0f0f, v90
	v_lshrrev_b32_e32 v90, 4, v90
	v_dot4c_i32_i8_e32 v64, v93, v18
	v_dot4c_i32_i8_e32 v65, v94, v19
	v_and_b32_e32 v90, 0xf0f0f0f, v90
	v_dot4c_i32_i8_e32 v95, v89, v20
	v_cvt_f32_i32_e32 v64, v64
	v_cvt_f32_i32_e32 v65, v65
	v_dot4c_i32_i8_e32 v97, v90, v21
	v_cvt_f32_i32_e32 v96, v95
	v_mul_f32_e32 v95, v1, v92
	v_mul_f32_e32 v88, v0, v91
	v_cvt_f32_i32_e32 v97, v97
	v_mul_f32_e32 v100, 0x3e000000, v95
	v_mul_f32_e32 v99, v3, v69
	v_pk_fma_f32 v[64:65], v[88:89], v[64:65], v[100:101] op_sel_hi:[0,1,0]
	v_mul_f32_e32 v98, v2, v68
	v_mul_f32_e32 v102, 0x3e000000, v99
	v_add_f32_e32 v64, 0, v64
	v_pk_fma_f32 v[96:97], v[98:99], v[96:97], v[102:103] op_sel_hi:[0,1,0]
	v_add_f32_e32 v64, v64, v65
	v_add_f32_e32 v64, v64, v96
	;; [unrolled: 1-line block ×3, first 2 shown]
	ds_bpermute_b32 v65, v78, v64
	s_waitcnt lgkmcnt(0)
	v_add_f32_e32 v88, v64, v65
	ds_bpermute_b32 v95, v79, v88
	v_lshl_add_u64 v[64:65], v[38:39], 0, s[38:39]
	s_waitcnt lgkmcnt(0)
	v_add_f32_e32 v88, v88, v95
	s_cbranch_vccz .LBB9_29
; %bb.28:                               ;   in Loop: Header=BB9_27 Depth=1
	global_load_ushort v95, v[64:65], off
	s_waitcnt vmcnt(0)
	v_fma_mix_f32 v88, v76, v95, v88 op_sel_hi:[0,1,0]
.LBB9_29:                               ;   in Loop: Header=BB9_27 Depth=1
	v_mov_b32_e32 v96, 0
	v_dot4c_i32_i8_e32 v96, v93, v22
	v_mov_b32_e32 v93, 0
	v_dot4c_i32_i8_e32 v93, v94, v23
	v_mul_f32_e32 v69, v7, v69
	v_cvt_f32_i32_e32 v94, v96
	v_mul_f32_e32 v96, v4, v91
	v_cvt_f32_i32_e32 v95, v93
	v_mul_f32_e32 v91, v5, v92
	v_mul_f32_e32 v92, 0x3e000000, v91
	;; [unrolled: 1-line block ×3, first 2 shown]
	v_pk_fma_f32 v[92:93], v[96:97], v[94:95], v[92:93] op_sel_hi:[0,1,0]
	v_add_f32_e32 v91, 0, v92
	v_mov_b32_e32 v92, 0
	v_dot4c_i32_i8_e32 v92, v89, v24
	v_mov_b32_e32 v89, 0
	v_dot4c_i32_i8_e32 v89, v90, v25
	v_add_f32_e32 v93, v91, v93
	v_cvt_f32_i32_e32 v90, v92
	v_mul_f32_e32 v92, 0x3e000000, v69
	v_cvt_f32_i32_e32 v91, v89
	v_cndmask_b32_e64 v89, 0, 1, s[52:53]
	v_cmp_ne_u32_e64 s[12:13], 1, v89
	s_andn2_b64 vcc, exec, s[52:53]
	v_pk_fma_f32 v[68:69], v[68:69], v[90:91], v[92:93] op_sel_hi:[0,1,0]
	v_add_f32_e32 v68, v93, v68
	v_add_f32_e32 v68, v68, v69
	ds_bpermute_b32 v69, v78, v68
	s_waitcnt lgkmcnt(0)
	v_add_f32_e32 v68, v68, v69
	ds_bpermute_b32 v69, v79, v68
	s_waitcnt lgkmcnt(0)
	v_add_f32_e32 v89, v68, v69
	s_cbranch_vccnz .LBB9_31
; %bb.30:                               ;   in Loop: Header=BB9_27 Depth=1
	v_lshl_add_u64 v[68:69], v[32:33], 0, s[38:39]
	global_load_ushort v68, v[68:69], off
	s_waitcnt vmcnt(0)
	v_fma_mix_f32 v89, v76, v68, v89 op_sel_hi:[0,1,0]
.LBB9_31:                               ;   in Loop: Header=BB9_27 Depth=1
	v_lshl_add_u64 v[90:91], v[36:37], 0, s[42:43]
	v_lshl_add_u64 v[68:69], v[40:41], 0, s[42:43]
	global_load_dword v92, v[90:91], off offset:4
	global_load_dword v94, v[68:69], off
	global_load_dword v96, v[90:91], off offset:24
	global_load_dword v97, v[68:69], off offset:20
	v_mov_b32_e32 v90, 0
	v_mov_b32_e32 v99, 0
	;; [unrolled: 1-line block ×4, first 2 shown]
	s_andn2_b64 vcc, exec, s[50:51]
	s_waitcnt vmcnt(3)
	v_and_b32_e32 v95, 0xf0f0f0f, v92
	v_lshrrev_b32_e32 v92, 4, v92
	s_waitcnt vmcnt(2)
	v_cvt_f32_f16_e32 v93, v94
	v_cvt_f32_f16_sdwa v94, v94 dst_sel:DWORD dst_unused:UNUSED_PAD src0_sel:WORD_1
	s_waitcnt vmcnt(1)
	v_and_b32_e32 v91, 0xf0f0f0f, v96
	s_waitcnt vmcnt(0)
	v_cvt_f32_f16_e32 v68, v97
	v_cvt_f32_f16_sdwa v69, v97 dst_sel:DWORD dst_unused:UNUSED_PAD src0_sel:WORD_1
	v_lshrrev_b32_e32 v97, 4, v96
	v_and_b32_e32 v96, 0xf0f0f0f, v92
	v_dot4c_i32_i8_e32 v90, v95, v18
	v_dot4c_i32_i8_e32 v99, v96, v19
	v_and_b32_e32 v92, 0xf0f0f0f, v97
	v_dot4c_i32_i8_e32 v100, v91, v20
	v_cvt_f32_i32_e32 v98, v90
	v_cvt_f32_i32_e32 v99, v99
	v_dot4c_i32_i8_e32 v101, v92, v21
	v_cvt_f32_i32_e32 v100, v100
	v_mul_f32_e32 v97, v1, v94
	v_mul_f32_e32 v90, v0, v93
	v_cvt_f32_i32_e32 v101, v101
	v_mul_f32_e32 v104, 0x3e000000, v97
	v_mul_f32_e32 v103, v3, v69
	v_pk_fma_f32 v[98:99], v[90:91], v[98:99], v[104:105] op_sel_hi:[0,1,0]
	v_mul_f32_e32 v102, v2, v68
	v_mul_f32_e32 v106, 0x3e000000, v103
	v_add_f32_e32 v90, 0, v98
	v_add_f32_e32 v90, v90, v99
	v_pk_fma_f32 v[98:99], v[102:103], v[100:101], v[106:107] op_sel_hi:[0,1,0]
	v_add_f32_e32 v90, v90, v98
	v_add_f32_e32 v90, v90, v99
	ds_bpermute_b32 v97, v78, v90
	v_cndmask_b32_e64 v98, 0, 1, s[50:51]
	v_cmp_ne_u32_e64 s[14:15], 1, v98
	s_waitcnt lgkmcnt(0)
	v_add_f32_e32 v90, v90, v97
	ds_bpermute_b32 v97, v79, v90
	s_waitcnt lgkmcnt(0)
	v_add_f32_e32 v90, v90, v97
	s_cbranch_vccnz .LBB9_33
; %bb.32:                               ;   in Loop: Header=BB9_27 Depth=1
	global_load_ushort v97, v[64:65], off offset:2
	s_waitcnt vmcnt(0)
	v_fma_mix_f32 v90, v76, v97, v90 op_sel_hi:[0,1,0]
.LBB9_33:                               ;   in Loop: Header=BB9_27 Depth=1
	v_mov_b32_e32 v98, 0
	v_dot4c_i32_i8_e32 v98, v95, v22
	v_mov_b32_e32 v95, 0
	v_dot4c_i32_i8_e32 v95, v96, v23
	v_mul_f32_e32 v69, v7, v69
	v_cvt_f32_i32_e32 v96, v98
	v_mul_f32_e32 v98, v4, v93
	v_cvt_f32_i32_e32 v97, v95
	v_mul_f32_e32 v93, v5, v94
	v_mul_f32_e32 v94, 0x3e000000, v93
	;; [unrolled: 1-line block ×3, first 2 shown]
	v_pk_fma_f32 v[94:95], v[98:99], v[96:97], v[94:95] op_sel_hi:[0,1,0]
	v_add_f32_e32 v93, 0, v94
	v_mov_b32_e32 v94, 0
	v_dot4c_i32_i8_e32 v94, v91, v24
	v_mov_b32_e32 v91, 0
	v_dot4c_i32_i8_e32 v91, v92, v25
	v_add_f32_e32 v95, v93, v95
	v_cvt_f32_i32_e32 v92, v94
	v_mul_f32_e32 v94, 0x3e000000, v69
	v_cvt_f32_i32_e32 v93, v91
	s_and_b64 vcc, exec, s[12:13]
	v_pk_fma_f32 v[68:69], v[68:69], v[92:93], v[94:95] op_sel_hi:[0,1,0]
	v_add_f32_e32 v68, v95, v68
	v_add_f32_e32 v68, v68, v69
	ds_bpermute_b32 v69, v78, v68
	s_waitcnt lgkmcnt(0)
	v_add_f32_e32 v68, v68, v69
	ds_bpermute_b32 v69, v79, v68
	s_waitcnt lgkmcnt(0)
	v_add_f32_e32 v91, v68, v69
	v_lshl_add_u64 v[68:69], v[44:45], 0, s[38:39]
	s_cbranch_vccnz .LBB9_35
; %bb.34:                               ;   in Loop: Header=BB9_27 Depth=1
	global_load_ushort v92, v[68:69], off offset:2
	s_waitcnt vmcnt(0)
	v_fma_mix_f32 v91, v76, v92, v91 op_sel_hi:[0,1,0]
.LBB9_35:                               ;   in Loop: Header=BB9_27 Depth=1
	v_lshl_add_u64 v[92:93], v[34:35], 0, s[42:43]
	v_lshl_add_u64 v[94:95], v[30:31], 0, s[42:43]
	global_load_dword v96, v[94:95], off offset:4
	global_load_dword v98, v[92:93], off
	global_load_dword v100, v[94:95], off offset:24
	s_nop 0
	global_load_dword v93, v[92:93], off offset:20
	v_mov_b32_e32 v101, 0
	v_mov_b32_e32 v103, 0
	;; [unrolled: 1-line block ×4, first 2 shown]
	s_and_b64 vcc, exec, s[14:15]
	s_waitcnt vmcnt(3)
	v_and_b32_e32 v99, 0xf0f0f0f, v96
	v_lshrrev_b32_e32 v96, 4, v96
	s_waitcnt vmcnt(2)
	v_cvt_f32_f16_e32 v97, v98
	v_cvt_f32_f16_sdwa v98, v98 dst_sel:DWORD dst_unused:UNUSED_PAD src0_sel:WORD_1
	s_waitcnt vmcnt(1)
	v_and_b32_e32 v95, 0xf0f0f0f, v100
	s_waitcnt vmcnt(0)
	v_cvt_f32_f16_e32 v92, v93
	v_cvt_f32_f16_sdwa v94, v93 dst_sel:DWORD dst_unused:UNUSED_PAD src0_sel:WORD_1
	v_lshrrev_b32_e32 v93, 4, v100
	v_and_b32_e32 v100, 0xf0f0f0f, v96
	v_dot4c_i32_i8_e32 v101, v99, v18
	v_dot4c_i32_i8_e32 v103, v100, v19
	v_and_b32_e32 v96, 0xf0f0f0f, v93
	v_dot4c_i32_i8_e32 v104, v95, v20
	v_cvt_f32_i32_e32 v102, v101
	v_cvt_f32_i32_e32 v103, v103
	v_dot4c_i32_i8_e32 v105, v96, v21
	v_cvt_f32_i32_e32 v104, v104
	v_mul_f32_e32 v93, v1, v98
	v_mul_f32_e32 v106, v0, v97
	v_cvt_f32_i32_e32 v105, v105
	v_mul_f32_e32 v110, 0x3e000000, v93
	v_mul_f32_e32 v101, v3, v94
	v_pk_fma_f32 v[102:103], v[106:107], v[102:103], v[110:111] op_sel_hi:[0,1,0]
	v_mul_f32_e32 v108, v2, v92
	v_mul_f32_e32 v112, 0x3e000000, v101
	v_add_f32_e32 v93, 0, v102
	v_add_f32_e32 v93, v93, v103
	v_pk_fma_f32 v[102:103], v[108:109], v[104:105], v[112:113] op_sel_hi:[0,1,0]
	v_add_f32_e32 v93, v93, v102
	v_add_f32_e32 v93, v93, v103
	ds_bpermute_b32 v101, v78, v93
	s_waitcnt lgkmcnt(0)
	v_add_f32_e32 v93, v93, v101
	ds_bpermute_b32 v101, v79, v93
	s_waitcnt lgkmcnt(0)
	v_add_f32_e32 v93, v93, v101
	s_cbranch_vccnz .LBB9_37
; %bb.36:                               ;   in Loop: Header=BB9_27 Depth=1
	global_load_ushort v101, v[64:65], off offset:4
	s_waitcnt vmcnt(0)
	v_fma_mix_f32 v93, v76, v101, v93 op_sel_hi:[0,1,0]
.LBB9_37:                               ;   in Loop: Header=BB9_27 Depth=1
	v_mov_b32_e32 v102, 0
	v_dot4c_i32_i8_e32 v102, v99, v22
	v_mov_b32_e32 v99, 0
	v_dot4c_i32_i8_e32 v99, v100, v23
	v_mul_f32_e32 v94, v7, v94
	v_cvt_f32_i32_e32 v100, v102
	v_mul_f32_e32 v102, v4, v97
	v_cvt_f32_i32_e32 v101, v99
	v_mul_f32_e32 v97, v5, v98
	v_mul_f32_e32 v98, 0x3e000000, v97
	;; [unrolled: 1-line block ×3, first 2 shown]
	v_pk_fma_f32 v[98:99], v[102:103], v[100:101], v[98:99] op_sel_hi:[0,1,0]
	v_add_f32_e32 v97, 0, v98
	v_add_f32_e32 v98, v97, v99
	v_mov_b32_e32 v99, 0
	v_dot4c_i32_i8_e32 v99, v95, v24
	v_mov_b32_e32 v95, 0
	v_dot4c_i32_i8_e32 v95, v96, v25
	v_mul_f32_e32 v94, 0x3e000000, v94
	v_cvt_f32_i32_e32 v96, v99
	s_and_b64 vcc, exec, s[12:13]
	v_cvt_f32_i32_e32 v97, v95
	v_pk_fma_f32 v[94:95], v[92:93], v[96:97], v[94:95] op_sel_hi:[0,1,0]
	v_add_f32_e32 v92, v98, v94
	v_add_f32_e32 v92, v92, v95
	ds_bpermute_b32 v94, v78, v92
	s_waitcnt lgkmcnt(0)
	v_add_f32_e32 v92, v92, v94
	ds_bpermute_b32 v94, v79, v92
	s_waitcnt lgkmcnt(0)
	v_add_f32_e32 v92, v92, v94
	s_cbranch_vccnz .LBB9_39
; %bb.38:                               ;   in Loop: Header=BB9_27 Depth=1
	global_load_ushort v94, v[68:69], off offset:4
	s_waitcnt vmcnt(0)
	v_fma_mix_f32 v92, v76, v94, v92 op_sel_hi:[0,1,0]
.LBB9_39:                               ;   in Loop: Header=BB9_27 Depth=1
	v_lshl_add_u64 v[94:95], v[28:29], 0, s[42:43]
	v_lshl_add_u64 v[96:97], v[26:27], 0, s[42:43]
	global_load_dword v98, v[96:97], off offset:4
	global_load_dword v100, v[94:95], off
	global_load_dword v102, v[96:97], off offset:24
	s_nop 0
	global_load_dword v94, v[94:95], off offset:20
	v_mov_b32_e32 v103, 0
	v_mov_b32_e32 v105, 0
	;; [unrolled: 1-line block ×4, first 2 shown]
	s_and_b64 vcc, exec, s[14:15]
	s_waitcnt vmcnt(3)
	v_and_b32_e32 v101, 0xf0f0f0f, v98
	v_lshrrev_b32_e32 v98, 4, v98
	s_waitcnt vmcnt(2)
	v_cvt_f32_f16_e32 v99, v100
	v_cvt_f32_f16_sdwa v100, v100 dst_sel:DWORD dst_unused:UNUSED_PAD src0_sel:WORD_1
	s_waitcnt vmcnt(1)
	v_and_b32_e32 v97, 0xf0f0f0f, v102
	s_waitcnt vmcnt(0)
	v_cvt_f32_f16_e32 v95, v94
	v_cvt_f32_f16_sdwa v96, v94 dst_sel:DWORD dst_unused:UNUSED_PAD src0_sel:WORD_1
	v_lshrrev_b32_e32 v94, 4, v102
	v_and_b32_e32 v102, 0xf0f0f0f, v98
	v_dot4c_i32_i8_e32 v103, v101, v18
	v_dot4c_i32_i8_e32 v105, v102, v19
	v_and_b32_e32 v98, 0xf0f0f0f, v94
	v_dot4c_i32_i8_e32 v106, v97, v20
	v_cvt_f32_i32_e32 v104, v103
	v_cvt_f32_i32_e32 v105, v105
	v_dot4c_i32_i8_e32 v107, v98, v21
	v_cvt_f32_i32_e32 v106, v106
	v_mul_f32_e32 v103, v1, v100
	v_mul_f32_e32 v94, v0, v99
	v_cvt_f32_i32_e32 v107, v107
	v_mul_f32_e32 v110, 0x3e000000, v103
	v_mul_f32_e32 v109, v3, v96
	v_pk_fma_f32 v[104:105], v[94:95], v[104:105], v[110:111] op_sel_hi:[0,1,0]
	v_mul_f32_e32 v108, v2, v95
	v_mul_f32_e32 v112, 0x3e000000, v109
	v_add_f32_e32 v94, 0, v104
	v_add_f32_e32 v94, v94, v105
	v_pk_fma_f32 v[104:105], v[108:109], v[106:107], v[112:113] op_sel_hi:[0,1,0]
	v_add_f32_e32 v94, v94, v104
	v_add_f32_e32 v94, v94, v105
	ds_bpermute_b32 v103, v78, v94
	s_waitcnt lgkmcnt(0)
	v_add_f32_e32 v94, v94, v103
	ds_bpermute_b32 v103, v79, v94
	s_waitcnt lgkmcnt(0)
	v_add_f32_e32 v94, v94, v103
	s_cbranch_vccnz .LBB9_41
; %bb.40:                               ;   in Loop: Header=BB9_27 Depth=1
	global_load_ushort v64, v[64:65], off offset:6
	s_waitcnt vmcnt(0)
	v_fma_mix_f32 v94, v76, v64, v94 op_sel_hi:[0,1,0]
.LBB9_41:                               ;   in Loop: Header=BB9_27 Depth=1
	v_mov_b32_e32 v64, 0
	v_mov_b32_e32 v65, 0
	v_dot4c_i32_i8_e32 v64, v101, v22
	v_dot4c_i32_i8_e32 v65, v102, v23
	v_mul_f32_e32 v102, v4, v99
	v_mul_f32_e32 v99, v5, v100
	v_cvt_f32_i32_e32 v64, v64
	v_cvt_f32_i32_e32 v65, v65
	v_mul_f32_e32 v100, 0x3e000000, v99
	s_and_b64 vcc, exec, s[12:13]
	v_pk_fma_f32 v[64:65], v[102:103], v[64:65], v[100:101] op_sel_hi:[0,1,0]
	v_add_f32_e32 v64, 0, v64
	v_add_f32_e32 v99, v64, v65
	v_mov_b32_e32 v64, 0
	v_mov_b32_e32 v65, 0
	v_dot4c_i32_i8_e32 v64, v97, v24
	v_dot4c_i32_i8_e32 v65, v98, v25
	v_mul_f32_e32 v98, v6, v95
	v_mul_f32_e32 v95, v7, v96
	v_cvt_f32_i32_e32 v64, v64
	v_cvt_f32_i32_e32 v65, v65
	v_mul_f32_e32 v96, 0x3e000000, v95
	v_pk_fma_f32 v[64:65], v[98:99], v[64:65], v[96:97] op_sel_hi:[0,1,0]
	v_add_f32_e32 v64, v99, v64
	v_add_f32_e32 v64, v64, v65
	ds_bpermute_b32 v65, v78, v64
	s_waitcnt lgkmcnt(0)
	v_add_f32_e32 v64, v64, v65
	ds_bpermute_b32 v65, v79, v64
	s_waitcnt lgkmcnt(0)
	v_add_f32_e32 v65, v64, v65
	s_cbranch_vccnz .LBB9_43
; %bb.42:                               ;   in Loop: Header=BB9_27 Depth=1
	global_load_ushort v64, v[68:69], off offset:6
	s_waitcnt vmcnt(0)
	v_fma_mix_f32 v65, v76, v64, v65 op_sel_hi:[0,1,0]
.LBB9_43:                               ;   in Loop: Header=BB9_27 Depth=1
	v_add_f32_e32 v64, 0x40051340, v88
	v_add_f32_e32 v68, 0x40051340, v90
	v_max3_f32 v64, v87, v64, v68
	v_add_f32_e32 v68, 0x40051340, v93
	v_add_f32_e32 v69, 0x40051340, v94
	v_max3_f32 v64, v64, v68, v69
	ds_bpermute_b32 v68, v80, v64
	v_cndmask_b32_e64 v66, v66, v88, s[16:17]
	v_cndmask_b32_e64 v67, v67, v89, s[16:17]
	v_add_f32_e32 v69, 0x40051340, v89
	v_add_f32_e32 v88, 0x40051340, v91
	s_waitcnt lgkmcnt(0)
	v_max_f32_e32 v68, v68, v68
	v_max_f32_e32 v64, v64, v68
	ds_bpermute_b32 v68, v81, v64
	v_cndmask_b32_e64 v95, v67, v91, s[6:7]
	v_max3_f32 v67, v86, v69, v88
	v_cndmask_b32_e64 v66, v66, v90, s[6:7]
	v_cndmask_b32_e64 v66, v66, v93, s[8:9]
	s_waitcnt lgkmcnt(0)
	v_max_f32_e32 v68, v68, v68
	v_max_f32_e32 v64, v64, v68
	ds_bpermute_b32 v68, v82, v64
	v_add_f32_e32 v89, 0x40051340, v92
	v_cndmask_b32_e64 v66, v66, v94, s[10:11]
	v_cndmask_b32_e64 v92, v95, v92, s[8:9]
	s_add_i32 s26, s26, s44
	s_waitcnt lgkmcnt(0)
	v_max_f32_e32 v68, v68, v68
	v_max_f32_e32 v64, v64, v68
	v_sub_f32_e32 v68, v87, v64
	v_mul_f32_e32 v69, 0x3fb8aa3b, v68
	v_fma_f32 v87, v68, s4, -v69
	v_rndne_f32_e32 v88, v69
	v_fmac_f32_e32 v87, 0x32a5705f, v68
	v_sub_f32_e32 v69, v69, v88
	v_add_f32_e32 v69, v69, v87
	v_exp_f32_e32 v69, v69
	v_cvt_i32_f32_e32 v87, v88
	v_add_f32_e32 v88, 0x40051340, v65
	v_max3_f32 v93, v67, v89, v88
	v_cmp_ngt_f32_e32 vcc, s18, v68
	v_ldexp_f32 v67, v69, v87
	v_sub_f32_e32 v87, v66, v64
	v_mul_f32_e32 v66, 0x3fb8aa3b, v87
	v_cndmask_b32_e32 v69, 0, v67, vcc
	v_fma_f32 v67, v87, s4, -v66
	v_rndne_f32_e32 v94, v66
	v_fmac_f32_e32 v67, 0x32a5705f, v87
	v_sub_f32_e32 v66, v66, v94
	v_add_f32_e32 v96, v66, v67
	v_lshl_add_u64 v[66:67], v[48:49], 0, s[40:41]
	global_load_dwordx4 v[88:91], v[66:67], off
	v_cvt_i32_f32_e32 v67, v94
	ds_bpermute_b32 v94, v80, v93
	v_exp_f32_e32 v66, v96
	v_cmp_nlt_f32_e32 vcc, s19, v68
	v_cndmask_b32_e64 v96, v92, v65, s[10:11]
	v_lshl_add_u64 v[26:27], v[26:27], 0, s[46:47]
	v_ldexp_f32 v66, v66, v67
	s_waitcnt lgkmcnt(0)
	v_max_f32_e32 v67, v94, v94
	v_max_f32_e32 v67, v93, v67
	v_cndmask_b32_e32 v68, v85, v69, vcc
	ds_bpermute_b32 v69, v81, v67
	v_cmp_ngt_f32_e32 vcc, s18, v87
	v_cvt_f16_f32_e32 v93, v68
	v_lshl_add_u64 v[28:29], v[28:29], 0, s[46:47]
	v_cndmask_b32_e32 v66, 0, v66, vcc
	s_waitcnt lgkmcnt(0)
	v_max_f32_e32 v69, v69, v69
	v_max_f32_e32 v67, v67, v69
	ds_bpermute_b32 v69, v82, v67
	v_cmp_nlt_f32_e32 vcc, s19, v87
	v_mul_u32_u24_e32 v100, 0x10001, v93
	v_pk_mul_f16 v101, v13, v100
	v_cndmask_b32_e32 v66, v85, v66, vcc
	s_waitcnt lgkmcnt(0)
	v_max_f32_e32 v65, v69, v69
	v_max_f32_e32 v65, v67, v65
	v_cvt_f16_f32_e32 v87, v66
	v_sub_f32_e32 v67, v86, v65
	v_mul_f32_e32 v69, 0x3fb8aa3b, v67
	v_fma_f32 v86, v67, s4, -v69
	v_rndne_f32_e32 v97, v69
	v_fmac_f32_e32 v86, 0x32a5705f, v67
	v_sub_f32_e32 v69, v69, v97
	ds_write_b16 v73, v87
	v_add_f32_e32 v69, v69, v86
	v_lshl_add_u64 v[86:87], v[52:53], 0, s[40:41]
	v_exp_f32_e32 v69, v69
	global_load_dwordx4 v[92:95], v[86:87], off
	v_cvt_i32_f32_e32 v86, v97
	v_pk_mul_f16 v87, v12, v100
	v_cmp_ngt_f32_e32 vcc, s18, v67
	v_pk_mul_f16 v14, v14, v100
	v_ldexp_f32 v12, v69, v86
	v_sub_f32_e32 v86, v96, v65
	v_mul_f32_e32 v13, 0x3fb8aa3b, v86
	v_fma_f32 v69, v86, s4, -v13
	v_rndne_f32_e32 v96, v13
	v_fmac_f32_e32 v69, 0x32a5705f, v86
	v_sub_f32_e32 v13, v13, v96
	v_add_f32_e32 v13, v13, v69
	v_exp_f32_e32 v13, v13
	v_cvt_i32_f32_e32 v96, v96
	v_cndmask_b32_e32 v12, 0, v12, vcc
	v_cmp_nlt_f32_e32 vcc, s19, v67
	v_pk_mul_f16 v15, v15, v100
	v_lshl_add_u64 v[30:31], v[30:31], 0, s[46:47]
	v_cndmask_b32_e32 v69, v85, v12, vcc
	v_ldexp_f32 v12, v13, v96
	v_cmp_ngt_f32_e32 vcc, s18, v86
	v_lshl_add_u64 v[32:33], v[32:33], 0, s[54:55]
	v_lshl_add_u64 v[34:35], v[34:35], 0, s[46:47]
	v_cndmask_b32_e32 v67, 0, v12, vcc
	v_cmp_nlt_f32_e32 vcc, s19, v86
	v_lshl_add_u64 v[12:13], v[56:57], 0, s[40:41]
	global_load_dwordx4 v[96:99], v[12:13], off
	v_cndmask_b32_e32 v67, v85, v67, vcc
	v_cvt_f16_f32_e32 v12, v67
	v_cvt_f16_f32_e32 v13, v69
	v_pk_fma_f32 v[16:17], v[16:17], v[68:69], v[66:67]
	v_lshl_add_u64 v[36:37], v[36:37], 0, s[46:47]
	ds_write_b16 v73, v12 offset:256
	v_mul_u32_u24_e32 v12, 0x10001, v13
	v_pk_mul_f16 v13, v8, v12
	v_pk_mul_f16 v68, v9, v12
	ds_read_u16 v8, v83
	ds_read_u16 v100, v83 offset:32
	ds_read_u16 v9, v83 offset:256
	;; [unrolled: 1-line block ×7, first 2 shown]
	s_waitcnt lgkmcnt(7)
	v_mul_u32_u24_e32 v106, 0x10001, v8
	s_waitcnt lgkmcnt(5)
	v_mul_u32_u24_e32 v107, 0x10001, v9
	v_lshl_add_u64 v[8:9], v[60:61], 0, s[40:41]
	v_pk_mul_f16 v69, v10, v12
	v_pk_mul_f16 v12, v11, v12
	global_load_dwordx4 v[8:11], v[8:9], off
	s_waitcnt vmcnt(3)
	v_lshlrev_b32_e32 v108, 16, v88
	v_and_b32_e32 v88, 0xffff0000, v88
	v_lshlrev_b32_e32 v109, 16, v89
	v_and_b32_e32 v89, 0xffff0000, v89
	;; [unrolled: 2-line block ×4, first 2 shown]
	v_cvt_pk_f16_f32 v88, v108, v88
	v_cvt_pk_f16_f32 v89, v109, v89
	;; [unrolled: 1-line block ×4, first 2 shown]
	v_pk_fma_f16 v87, v88, v106, v87
	v_pk_fma_f16 v108, v88, v107, v13
	;; [unrolled: 1-line block ×6, first 2 shown]
	v_lshl_add_u64 v[12:13], v[62:63], 0, s[40:41]
	v_pk_fma_f16 v109, v89, v107, v68
	global_load_dwordx4 v[12:15], v[12:13], off
	ds_read_u16 v111, v84 offset:48
	ds_read_u16 v112, v84 offset:56
	;; [unrolled: 1-line block ×8, first 2 shown]
	v_pk_fma_f16 v90, v90, v107, v69
	s_waitcnt lgkmcnt(12)
	v_mul_u32_u24_e32 v107, 0x10001, v86
	s_waitcnt lgkmcnt(5)
	v_mul_u32_u24_e32 v118, 0x10001, v68
	v_mul_u32_u24_e32 v102, 0x10001, v102
	s_waitcnt lgkmcnt(4)
	v_mul_u32_u24_e32 v113, 0x10001, v113
	v_mul_u32_u24_e32 v100, 0x10001, v100
	v_lshl_add_u64 v[38:39], v[38:39], 0, s[54:55]
	v_lshl_add_u64 v[40:41], v[40:41], 0, s[46:47]
	;; [unrolled: 1-line block ×8, first 2 shown]
	s_waitcnt vmcnt(3)
	v_lshlrev_b32_e32 v68, 16, v92
	v_and_b32_e32 v69, 0xffff0000, v92
	v_lshlrev_b32_e32 v86, 16, v93
	v_and_b32_e32 v88, 0xffff0000, v93
	;; [unrolled: 2-line block ×4, first 2 shown]
	v_cvt_pk_f16_f32 v95, v68, v69
	v_cvt_pk_f16_f32 v119, v86, v88
	;; [unrolled: 1-line block ×4, first 2 shown]
	v_lshl_add_u64 v[68:69], v[58:59], 0, s[40:41]
	v_pk_fma_f16 v94, v95, v107, v87
	global_load_dwordx4 v[86:89], v[68:69], off
	v_pk_fma_f16 v95, v95, v118, v108
	v_pk_fma_f16 v101, v119, v107, v101
	;; [unrolled: 1-line block ×7, first 2 shown]
	v_lshl_add_u64 v[58:59], v[58:59], 0, s[48:49]
	v_lshl_add_u64 v[60:61], v[60:61], 0, s[48:49]
	s_cmp_ge_i32 s26, s37
	v_lshl_add_u64 v[62:63], v[62:63], 0, s[48:49]
	s_waitcnt vmcnt(3)
	v_lshlrev_b32_e32 v68, 16, v96
	v_and_b32_e32 v69, 0xffff0000, v96
	v_lshlrev_b32_e32 v90, 16, v97
	v_and_b32_e32 v91, 0xffff0000, v97
	;; [unrolled: 2-line block ×4, first 2 shown]
	v_cvt_pk_f16_f32 v98, v68, v69
	v_cvt_pk_f16_f32 v99, v90, v91
	v_lshl_add_u64 v[68:69], v[54:55], 0, s[40:41]
	v_cvt_pk_f16_f32 v118, v92, v93
	global_load_dwordx4 v[90:93], v[68:69], off
	v_cvt_pk_f16_f32 v68, v96, v97
	v_pk_fma_f16 v69, v98, v102, v94
	v_pk_fma_f16 v94, v98, v113, v95
	;; [unrolled: 1-line block ×3, first 2 shown]
	v_mul_u32_u24_e32 v101, 0x10001, v103
	s_waitcnt vmcnt(3)
	v_lshlrev_b32_e32 v103, 16, v8
	v_and_b32_e32 v8, 0xffff0000, v8
	v_pk_fma_f16 v96, v99, v113, v108
	v_pk_fma_f16 v99, v68, v102, v106
	;; [unrolled: 1-line block ×3, first 2 shown]
	v_lshlrev_b32_e32 v106, 16, v9
	v_and_b32_e32 v107, 0xffff0000, v9
	v_cvt_pk_f16_f32 v103, v103, v8
	v_lshl_add_u64 v[8:9], v[50:51], 0, s[40:41]
	v_pk_fma_f16 v97, v118, v102, v109
	v_pk_fma_f16 v98, v118, v113, v110
	v_lshlrev_b32_e32 v108, 16, v10
	v_and_b32_e32 v109, 0xffff0000, v10
	v_lshlrev_b32_e32 v110, 16, v11
	v_and_b32_e32 v113, 0xffff0000, v11
	global_load_dwordx4 v[8:11], v[8:9], off
	s_waitcnt lgkmcnt(3)
	v_mul_u32_u24_e32 v102, 0x10001, v114
	v_cvt_pk_f16_f32 v106, v106, v107
	v_cvt_pk_f16_f32 v107, v108, v109
	;; [unrolled: 1-line block ×3, first 2 shown]
	v_pk_fma_f16 v69, v103, v101, v69
	v_pk_fma_f16 v94, v103, v102, v94
	;; [unrolled: 1-line block ×8, first 2 shown]
	v_mul_u32_u24_e32 v101, 0x10001, v105
	s_waitcnt vmcnt(3)
	v_lshlrev_b32_e32 v102, 16, v12
	v_and_b32_e32 v12, 0xffff0000, v12
	v_lshlrev_b32_e32 v103, 16, v13
	v_and_b32_e32 v13, 0xffff0000, v13
	;; [unrolled: 2-line block ×4, first 2 shown]
	v_cvt_pk_f16_f32 v12, v102, v12
	v_cvt_pk_f16_f32 v13, v103, v13
	v_cvt_pk_f16_f32 v14, v105, v14
	v_cvt_pk_f16_f32 v15, v106, v15
	v_pk_fma_f16 v69, v12, v100, v69
	v_pk_fma_f16 v12, v12, v101, v94
	;; [unrolled: 1-line block ×8, first 2 shown]
	s_waitcnt vmcnt(2)
	v_lshlrev_b32_e32 v98, 16, v86
	v_and_b32_e32 v86, 0xffff0000, v86
	v_lshlrev_b32_e32 v99, 16, v87
	v_and_b32_e32 v87, 0xffff0000, v87
	;; [unrolled: 2-line block ×4, first 2 shown]
	v_mul_u32_u24_e32 v68, 0x10001, v104
	s_waitcnt lgkmcnt(2)
	v_mul_u32_u24_e32 v97, 0x10001, v115
	v_cvt_pk_f16_f32 v86, v98, v86
	v_cvt_pk_f16_f32 v87, v99, v87
	;; [unrolled: 1-line block ×4, first 2 shown]
	v_pk_fma_f16 v69, v86, v68, v69
	v_pk_fma_f16 v12, v86, v97, v12
	;; [unrolled: 1-line block ×8, first 2 shown]
	v_mul_u32_u24_e32 v88, 0x10001, v111
	s_waitcnt lgkmcnt(1)
	v_mul_u32_u24_e32 v89, 0x10001, v116
	v_lshl_add_u64 v[50:51], v[50:51], 0, s[48:49]
	s_waitcnt vmcnt(1)
	v_lshlrev_b32_e32 v94, 16, v90
	v_and_b32_e32 v90, 0xffff0000, v90
	v_lshlrev_b32_e32 v95, 16, v91
	v_and_b32_e32 v91, 0xffff0000, v91
	;; [unrolled: 2-line block ×4, first 2 shown]
	v_cvt_pk_f16_f32 v90, v94, v90
	v_cvt_pk_f16_f32 v91, v95, v91
	;; [unrolled: 1-line block ×4, first 2 shown]
	v_pk_fma_f16 v69, v90, v88, v69
	v_pk_fma_f16 v90, v90, v89, v12
	;; [unrolled: 1-line block ×8, first 2 shown]
	v_mul_u32_u24_e32 v15, 0x10001, v112
	s_waitcnt vmcnt(0)
	v_lshlrev_b32_e32 v12, 16, v8
	v_and_b32_e32 v8, 0xffff0000, v8
	v_lshlrev_b32_e32 v13, 16, v9
	v_and_b32_e32 v9, 0xffff0000, v9
	;; [unrolled: 2-line block ×4, first 2 shown]
	s_waitcnt lgkmcnt(0)
	v_mul_u32_u24_e32 v89, 0x10001, v117
	v_cvt_pk_f16_f32 v8, v12, v8
	v_cvt_pk_f16_f32 v9, v13, v9
	;; [unrolled: 1-line block ×4, first 2 shown]
	v_pk_fma_f16 v12, v8, v15, v69
	v_pk_fma_f16 v8, v8, v89, v90
	;; [unrolled: 1-line block ×8, first 2 shown]
	v_lshl_add_u64 v[54:55], v[54:55], 0, s[48:49]
	s_cbranch_scc1 .LBB9_46
; %bb.44:                               ;   in Loop: Header=BB9_27 Depth=1
	v_mov_b32_e32 v87, v64
	v_mov_b32_e32 v86, v65
	s_branch .LBB9_27
.LBB9_45:
	v_mov_b32_e32 v64, 0xfeffffff
	v_mov_b32_e32 v65, v64
	;; [unrolled: 1-line block ×3, first 2 shown]
	s_branch .LBB9_47
.LBB9_46:
	ds_write_b128 v74, v[12:15]
	ds_write_b128 v74, v[8:11] offset:16
.LBB9_47:
	s_cmp_eq_u64 s[24:25], 0
	s_cselect_b64 s[6:7], -1, 0
	s_cmp_lg_u32 s5, 0
	s_cselect_b64 s[8:9], -1, 0
	s_or_b64 s[6:7], s[8:9], s[6:7]
	s_nor_b64 s[0:1], s[6:7], s[0:1]
	s_and_saveexec_b64 s[8:9], s[0:1]
	s_cbranch_execz .LBB9_49
; %bb.48:
	s_ashr_i32 s37, s36, 31
	s_lshl_b64 s[0:1], s[36:37], 2
	s_add_u32 s0, s24, s0
	s_addc_u32 s1, s25, s1
	s_load_dword s4, s[0:1], 0x0
	v_cmp_eq_u32_e32 vcc, 1, v72
	s_mov_b32 s10, 0x3fb8aa3b
	v_cmp_eq_u32_e64 s[0:1], 0, v72
	v_cndmask_b32_e32 v0, v64, v65, vcc
	v_max_f32_e32 v1, v0, v0
	s_waitcnt lgkmcnt(0)
	v_max_f32_e64 v2, s4, s4
	v_max_f32_e32 v1, v2, v1
	v_sub_f32_e32 v0, v0, v1
	v_mul_f32_e32 v2, 0x3fb8aa3b, v0
	v_fma_f32 v3, v0, s10, -v2
	v_rndne_f32_e32 v5, v2
	v_fmac_f32_e32 v3, 0x32a5705f, v0
	v_sub_f32_e32 v2, v2, v5
	v_add_f32_e32 v2, v2, v3
	v_exp_f32_e32 v2, v2
	v_cvt_i32_f32_e32 v3, v5
	v_cndmask_b32_e32 v65, v65, v1, vcc
	v_cndmask_b32_e64 v64, v64, v1, s[0:1]
	v_sub_f32_e32 v1, s4, v1
	v_ldexp_f32 v2, v2, v3
	v_mul_f32_e32 v3, 0x3fb8aa3b, v1
	v_fma_f32 v6, v1, s10, -v3
	v_rndne_f32_e32 v7, v3
	v_fmac_f32_e32 v6, 0x32a5705f, v1
	v_sub_f32_e32 v3, v3, v7
	v_add_f32_e32 v3, v3, v6
	v_exp_f32_e32 v3, v3
	v_cvt_i32_f32_e32 v6, v7
	s_mov_b32 s11, 0xc2ce8ed0
	v_cmp_ngt_f32_e64 s[6:7], s11, v0
	s_mov_b32 s12, 0x42b17218
	v_mov_b32_e32 v7, 0x7f800000
	v_cndmask_b32_e64 v2, 0, v2, s[6:7]
	v_cmp_nlt_f32_e64 s[6:7], s12, v0
	v_ldexp_f32 v0, v3, v6
	v_lshl_add_u32 v4, v72, 4, v74
	v_cndmask_b32_e64 v8, v7, v2, s[6:7]
	v_cmp_ngt_f32_e64 s[6:7], s11, v1
	v_cndmask_b32_e32 v5, v16, v17, vcc
	s_nop 0
	v_cndmask_b32_e64 v0, 0, v0, s[6:7]
	v_cmp_nlt_f32_e64 s[6:7], s12, v1
	s_nop 1
	v_cndmask_b32_e64 v0, v7, v0, s[6:7]
	v_cmp_eq_u32_e64 s[6:7], 0, v70
	v_cvt_f16_f32_e32 v7, v8
	s_nop 0
	v_cndmask_b32_e64 v6, 0, v0, s[6:7]
	ds_read_b128 v[0:3], v4
	v_fmac_f32_e32 v6, v5, v8
	v_mul_u32_u24_e32 v5, 0x10001, v7
	v_cndmask_b32_e32 v17, v17, v6, vcc
	v_cndmask_b32_e64 v16, v16, v6, s[0:1]
	s_waitcnt lgkmcnt(0)
	v_pk_mul_f16 v0, v0, v5
	v_pk_mul_f16 v1, v1, v5
	;; [unrolled: 1-line block ×4, first 2 shown]
	ds_write_b128 v4, v[0:3]
.LBB9_49:
	s_or_b64 exec, exec, s[8:9]
	v_cmp_eq_u32_e32 vcc, 0, v72
	v_add_u32_e32 v2, 0x900, v75
	v_add_u32_e32 v8, 0x800, v75
	s_and_saveexec_b64 s[0:1], vcc
	s_cbranch_execz .LBB9_51
; %bb.50:
	v_mov_b32_e32 v0, 0xfeffffff
	v_mov_b32_e32 v1, 0
	ds_write2_b32 v8, v0, v0 offset1:32
	ds_write2_b32 v2, v1, v1 offset1:32
.LBB9_51:
	s_or_b64 exec, exec, s[0:1]
	v_cmp_eq_u32_e64 s[0:1], 0, v70
	s_waitcnt lgkmcnt(0)
	s_barrier
	s_and_saveexec_b64 s[6:7], s[0:1]
; %bb.52:
	v_lshlrev_b32_e32 v0, 2, v72
	v_add_u32_e32 v0, 0x800, v0
	ds_write2_b32 v0, v64, v65 offset1:32
; %bb.53:
	s_or_b64 exec, exec, s[6:7]
	s_cmp_lt_i32 s33, s34
	s_waitcnt lgkmcnt(0)
	s_barrier
	s_cbranch_scc1 .LBB9_55
; %bb.54:
	s_add_u32 s8, s2, 0xd0
	s_addc_u32 s9, s3, 0
	s_mul_i32 s64, s64, s34
	s_cbranch_execz .LBB9_56
	s_branch .LBB9_68
.LBB9_55:
                                        ; implicit-def: $sgpr8_sgpr9
	s_mul_i32 s64, s64, s34
.LBB9_56:
	v_mbcnt_hi_u32_b32 v0, -1, v77
	v_and_b32_e32 v1, 0x60, v0
	ds_read_b32 v4, v8
	v_add_u32_e32 v1, 32, v1
	v_xor_b32_e32 v3, 16, v0
	v_cmp_lt_i32_e32 vcc, v3, v1
	s_mov_b32 s4, 0x3fb8aa3b
	s_nop 0
	v_cndmask_b32_e32 v3, v0, v3, vcc
	v_lshlrev_b32_e32 v7, 2, v3
	s_waitcnt lgkmcnt(0)
	ds_bpermute_b32 v5, v7, v4
	v_xor_b32_e32 v3, 8, v0
	v_cmp_lt_i32_e32 vcc, v3, v1
	v_max_f32_e32 v4, v4, v4
	s_waitcnt lgkmcnt(0)
	v_max_f32_e32 v5, v5, v5
	v_cndmask_b32_e32 v3, v0, v3, vcc
	v_lshlrev_b32_e32 v3, 2, v3
	v_max_f32_e32 v4, v4, v5
	ds_bpermute_b32 v6, v3, v4
	v_xor_b32_e32 v5, 4, v0
	v_cmp_lt_i32_e32 vcc, v5, v1
	s_waitcnt lgkmcnt(0)
	v_max_f32_e32 v6, v6, v6
	v_cndmask_b32_e32 v5, v0, v5, vcc
	v_lshlrev_b32_e32 v5, 2, v5
	v_max_f32_e32 v4, v4, v6
	ds_bpermute_b32 v9, v5, v4
	v_xor_b32_e32 v6, 2, v0
	v_cmp_lt_i32_e32 vcc, v6, v1
	;; [unrolled: 8-line block ×3, first 2 shown]
	s_nop 1
	v_cndmask_b32_e32 v0, v0, v4, vcc
	v_lshlrev_b32_e32 v4, 2, v0
	s_waitcnt lgkmcnt(0)
	v_max_f32_e32 v0, v10, v10
	v_max_f32_e32 v0, v9, v0
	ds_bpermute_b32 v1, v4, v0
	s_waitcnt lgkmcnt(0)
	v_max_f32_e32 v1, v1, v1
	v_max_f32_e32 v0, v0, v1
	v_sub_f32_e32 v1, v64, v0
	v_mul_f32_e32 v9, 0x3fb8aa3b, v1
	v_fma_f32 v10, v1, s4, -v9
	v_rndne_f32_e32 v11, v9
	v_fmamk_f32 v10, v1, 0x32a5705f, v10
	v_sub_f32_e32 v9, v9, v11
	v_add_f32_e32 v9, v9, v10
	v_exp_f32_e32 v9, v9
	v_cvt_i32_f32_e32 v10, v11
	s_mov_b32 s4, 0xc2ce8ed0
	v_cmp_ngt_f32_e32 vcc, s4, v1
	s_mov_b32 s4, 0x42b17218
	v_ldexp_f32 v9, v9, v10
	v_cndmask_b32_e32 v9, 0, v9, vcc
	v_mov_b32_e32 v10, 0x7f800000
	v_cmp_nlt_f32_e32 vcc, s4, v1
	s_movk_i32 s4, 0x70
	s_nop 0
	v_cndmask_b32_e32 v1, v10, v9, vcc
	v_mul_f32_e32 v9, v16, v1
	ds_bpermute_b32 v10, v7, v9
	v_mov_b32_e32 v9, 0x900
	v_lshl_add_u32 v9, v72, 2, v9
	s_waitcnt lgkmcnt(0)
	v_fmac_f32_e32 v10, v16, v1
	ds_bpermute_b32 v11, v3, v10
	v_lshlrev_b32_e32 v16, 4, v70
	v_and_b32_e32 v12, 0x780, v16
	v_lshl_add_u32 v18, v72, 9, v12
	v_cvt_f16_f32_e32 v1, v1
	s_waitcnt lgkmcnt(0)
	v_add_f32_e32 v10, v10, v11
	ds_bpermute_b32 v11, v5, v10
	ds_read_b128 v[12:15], v74
	v_mul_u32_u24_e32 v1, 0x10001, v1
	s_waitcnt lgkmcnt(1)
	v_add_f32_e32 v11, v10, v11
	ds_bpermute_b32 v19, v6, v11
	v_and_or_b32 v10, v16, s4, v18
	s_waitcnt lgkmcnt(1)
	v_pk_mul_f16 v12, v12, v1
	v_pk_mul_f16 v13, v13, v1
	;; [unrolled: 1-line block ×3, first 2 shown]
	s_waitcnt lgkmcnt(0)
	v_add_f32_e32 v11, v11, v19
	ds_bpermute_b32 v16, v4, v11
	v_pk_mul_f16 v15, v15, v1
	ds_write_b128 v74, v[12:15]
	ds_write_b128 v10, v[12:15]
	s_waitcnt lgkmcnt(2)
	v_add_f32_e32 v16, v11, v16
	s_and_saveexec_b64 s[6:7], s[0:1]
; %bb.57:
	ds_write_b32 v9, v16
; %bb.58:
	s_or_b64 exec, exec, s[6:7]
	s_add_u32 s8, s2, 0xd0
	v_cmp_gt_u32_e64 s[6:7], 64, v71
	s_addc_u32 s9, s3, 0
	s_add_i32 s4, s33, s64
	s_waitcnt lgkmcnt(0)
	s_barrier
	s_and_saveexec_b64 s[2:3], s[6:7]
	s_cbranch_execz .LBB9_60
; %bb.59:
	ds_read_b32 v13, v2
	ds_read_u16 v1, v73
	ds_read_u16 v11, v73 offset:128
	ds_read_u16 v12, v73 offset:256
	ds_read_u16 v14, v73 offset:384
	ds_read_u16 v16, v73 offset:512
	ds_read_u16 v18, v73 offset:640
	ds_read_u16 v19, v73 offset:768
	s_waitcnt lgkmcnt(6)
	v_cvt_f32_f16_e32 v1, v1
	s_waitcnt lgkmcnt(5)
	v_cvt_f32_f16_e32 v11, v11
	s_waitcnt lgkmcnt(4)
	v_cvt_f32_f16_e32 v12, v12
	s_waitcnt lgkmcnt(3)
	v_cvt_f32_f16_e32 v14, v14
	v_add_f32_e32 v1, 0, v1
	v_add_f32_e32 v1, v1, v11
	s_waitcnt lgkmcnt(2)
	v_cvt_f32_f16_e32 v11, v16
	v_add_f32_e32 v1, v1, v12
	s_waitcnt lgkmcnt(1)
	v_cvt_f32_f16_e32 v12, v18
	;; [unrolled: 3-line block ×3, first 2 shown]
	ds_read_u16 v16, v73 offset:896
	ds_read_u16 v18, v73 offset:1024
	;; [unrolled: 1-line block ×8, first 2 shown]
	s_waitcnt lgkmcnt(7)
	v_cvt_f32_f16_e32 v16, v16
	v_add_f32_e32 v1, v1, v11
	v_add_f32_e32 v1, v1, v12
	s_waitcnt lgkmcnt(6)
	v_cvt_f32_f16_e32 v11, v18
	v_add_f32_e32 v1, v1, v14
	s_waitcnt lgkmcnt(5)
	v_cvt_f32_f16_e32 v12, v19
	ds_bpermute_b32 v15, v7, v13
	v_add_f32_e32 v1, v1, v16
	s_waitcnt lgkmcnt(5)
	v_cvt_f32_f16_e32 v16, v20
	s_waitcnt lgkmcnt(4)
	v_cvt_f32_f16_e32 v14, v21
	v_add_f32_e32 v1, v1, v11
	v_add_f32_e32 v1, v1, v12
	;; [unrolled: 1-line block ×3, first 2 shown]
	s_waitcnt lgkmcnt(0)
	v_pk_add_f32 v[12:13], v[12:13], v[14:15]
	ds_bpermute_b32 v15, v3, v13
	v_cvt_f32_f16_e32 v14, v22
	ds_read_u16 v1, v73 offset:1920
	s_load_dword s12, s[8:9], 0x4
	s_mul_i32 s10, s4, s35
	s_waitcnt lgkmcnt(0)
	v_pk_add_f32 v[12:13], v[12:13], v[14:15]
	ds_bpermute_b32 v15, v5, v13
	v_cvt_f32_f16_e32 v14, v23
	s_add_i32 s10, s10, s36
	s_mul_i32 s10, s12, s10
	s_add_i32 s10, s10, s5
	s_waitcnt lgkmcnt(0)
	v_pk_add_f32 v[12:13], v[12:13], v[14:15]
	ds_bpermute_b32 v15, v6, v13
	v_cvt_f32_f16_e32 v14, v24
	v_lshl_or_b32 v18, s10, 6, v71
	v_mov_b32_e32 v19, 0
	s_cmp_eq_u32 s12, 1
	s_waitcnt lgkmcnt(0)
	v_pk_add_f32 v[12:13], v[12:13], v[14:15]
	ds_bpermute_b32 v15, v4, v13
	v_cvt_f32_f16_e32 v14, v1
	s_waitcnt lgkmcnt(0)
	v_pk_add_f32 v[12:13], v[12:13], v[14:15]
	s_nop 0
	v_div_scale_f32 v1, s[10:11], v13, v13, v12
	v_rcp_f32_e32 v11, v1
	v_lshl_add_u64 v[14:15], v[18:19], 2, s[28:29]
	v_fma_f32 v16, -v1, v11, 1.0
	v_fmac_f32_e32 v11, v16, v11
	v_div_scale_f32 v16, vcc, v12, v13, v12
	v_mul_f32_e32 v18, v16, v11
	v_fma_f32 v19, -v1, v18, v16
	v_fmac_f32_e32 v18, v19, v11
	v_fma_f32 v1, -v1, v18, v16
	v_div_fmas_f32 v1, v1, v11, v18
	v_div_fixup_f32 v1, v1, v13, v12
	s_cselect_b64 vcc, -1, 0
	v_cndmask_b32_e32 v1, v12, v1, vcc
	v_mov_b32_e32 v16, v13
	global_store_dword v[14:15], v1, off
.LBB9_60:
	s_or_b64 exec, exec, s[2:3]
	s_or_b32 s2, s33, 1
	s_cmp_ge_i32 s2, s34
	s_barrier
	s_cbranch_scc1 .LBB9_66
; %bb.61:
	ds_read_b32 v1, v8 offset:128
	s_mov_b32 s2, 0x3fb8aa3b
	s_mov_b32 s3, 0x42b17218
	s_waitcnt lgkmcnt(0)
	ds_bpermute_b32 v8, v7, v1
	v_max_f32_e32 v1, v1, v1
	s_waitcnt lgkmcnt(0)
	v_max_f32_e32 v8, v8, v8
	v_max_f32_e32 v1, v1, v8
	ds_bpermute_b32 v8, v3, v1
	s_waitcnt lgkmcnt(0)
	v_max_f32_e32 v8, v8, v8
	v_max_f32_e32 v1, v1, v8
	ds_bpermute_b32 v8, v5, v1
	;; [unrolled: 4-line block ×4, first 2 shown]
	s_waitcnt lgkmcnt(0)
	v_max_f32_e32 v8, v8, v8
	v_max_f32_e32 v1, v1, v8
	v_sub_f32_e32 v8, v65, v1
	v_mul_f32_e32 v11, 0x3fb8aa3b, v8
	v_fma_f32 v12, v8, s2, -v11
	v_rndne_f32_e32 v13, v11
	v_fmamk_f32 v12, v8, 0x32a5705f, v12
	v_sub_f32_e32 v11, v11, v13
	v_add_f32_e32 v11, v11, v12
	v_cvt_i32_f32_e32 v13, v13
	v_exp_f32_e32 v11, v11
	s_mov_b32 s2, 0xc2ce8ed0
	v_cmp_ngt_f32_e32 vcc, s2, v8
	v_mov_b32_e32 v12, 0x7f800000
	v_ldexp_f32 v11, v11, v13
	v_cndmask_b32_e32 v11, 0, v11, vcc
	v_cmp_nlt_f32_e32 vcc, s3, v8
	s_nop 1
	v_cndmask_b32_e32 v8, v12, v11, vcc
	v_mul_f32_e32 v11, v17, v8
	ds_bpermute_b32 v11, v7, v11
	s_waitcnt lgkmcnt(0)
	v_fmac_f32_e32 v11, v17, v8
	ds_bpermute_b32 v12, v3, v11
	v_cvt_f16_f32_e32 v8, v8
	s_waitcnt lgkmcnt(0)
	v_add_f32_e32 v11, v11, v12
	ds_bpermute_b32 v17, v5, v11
	ds_read_b128 v[12:15], v74 offset:16
	v_mul_u32_u24_e32 v8, 0x10001, v8
	s_waitcnt lgkmcnt(1)
	v_add_f32_e32 v11, v11, v17
	ds_bpermute_b32 v17, v6, v11
	s_waitcnt lgkmcnt(1)
	v_pk_mul_f16 v12, v12, v8
	v_pk_mul_f16 v13, v13, v8
	;; [unrolled: 1-line block ×4, first 2 shown]
	s_waitcnt lgkmcnt(0)
	v_add_f32_e32 v11, v11, v17
	ds_bpermute_b32 v17, v4, v11
	ds_write_b128 v74, v[12:15] offset:16
	ds_write_b128 v10, v[12:15]
	s_waitcnt lgkmcnt(2)
	v_add_f32_e32 v17, v11, v17
	s_and_saveexec_b64 s[2:3], s[0:1]
; %bb.62:
	ds_write_b32 v9, v17 offset:128
; %bb.63:
	s_or_b64 exec, exec, s[2:3]
	s_waitcnt lgkmcnt(0)
	s_barrier
	s_and_saveexec_b64 s[0:1], s[6:7]
	s_cbranch_execz .LBB9_65
; %bb.64:
	ds_read_b32 v9, v2 offset:128
	ds_read_u16 v2, v73
	ds_read_u16 v8, v73 offset:128
	ds_read_u16 v10, v73 offset:256
	;; [unrolled: 1-line block ×6, first 2 shown]
	s_waitcnt lgkmcnt(6)
	v_cvt_f32_f16_e32 v2, v2
	ds_bpermute_b32 v11, v7, v9
	s_waitcnt lgkmcnt(6)
	v_cvt_f32_f16_e32 v7, v8
	s_waitcnt lgkmcnt(5)
	v_cvt_f32_f16_e32 v8, v10
	;; [unrolled: 2-line block ×3, first 2 shown]
	v_add_f32_e32 v2, 0, v2
	v_add_f32_e32 v2, v2, v7
	s_waitcnt lgkmcnt(3)
	v_cvt_f32_f16_e32 v7, v13
	v_add_f32_e32 v2, v2, v8
	s_waitcnt lgkmcnt(2)
	v_cvt_f32_f16_e32 v8, v14
	;; [unrolled: 3-line block ×3, first 2 shown]
	ds_read_u16 v12, v73 offset:896
	ds_read_u16 v13, v73 offset:1024
	;; [unrolled: 1-line block ×8, first 2 shown]
	s_waitcnt lgkmcnt(7)
	v_cvt_f32_f16_e32 v12, v12
	v_add_f32_e32 v2, v2, v7
	v_add_f32_e32 v2, v2, v8
	s_waitcnt lgkmcnt(6)
	v_cvt_f32_f16_e32 v7, v13
	v_add_f32_e32 v2, v2, v10
	s_waitcnt lgkmcnt(5)
	v_cvt_f32_f16_e32 v8, v14
	;; [unrolled: 3-line block ×3, first 2 shown]
	s_waitcnt lgkmcnt(3)
	v_cvt_f32_f16_e32 v10, v17
	v_add_f32_e32 v2, v2, v7
	v_add_f32_e32 v2, v2, v8
	;; [unrolled: 1-line block ×3, first 2 shown]
	v_pk_add_f32 v[8:9], v[8:9], v[10:11]
	ds_bpermute_b32 v3, v3, v9
	s_waitcnt lgkmcnt(3)
	v_cvt_f32_f16_e32 v2, v18
	s_load_dword s6, s[8:9], 0x4
	s_add_i32 s2, s4, 1
	s_mul_i32 s2, s2, s35
	s_waitcnt lgkmcnt(0)
	v_pk_add_f32 v[2:3], v[8:9], v[2:3]
	ds_bpermute_b32 v9, v5, v3
	v_cvt_f32_f16_e32 v8, v19
	s_add_i32 s2, s2, s36
	s_mul_i32 s2, s6, s2
	s_add_i32 s2, s2, s5
	s_waitcnt lgkmcnt(0)
	v_pk_add_f32 v[2:3], v[2:3], v[8:9]
	ds_bpermute_b32 v7, v6, v3
	v_cvt_f32_f16_e32 v6, v20
	ds_read_u16 v8, v73 offset:1920
	s_cmp_eq_u32 s6, 1
	s_waitcnt lgkmcnt(1)
	v_pk_add_f32 v[2:3], v[2:3], v[6:7]
	ds_bpermute_b32 v5, v4, v3
	s_waitcnt lgkmcnt(1)
	v_cvt_f32_f16_e32 v4, v8
	v_lshl_or_b32 v6, s2, 6, v71
	v_mov_b32_e32 v7, 0
	s_waitcnt lgkmcnt(0)
	v_pk_add_f32 v[2:3], v[2:3], v[4:5]
	s_nop 0
	v_div_scale_f32 v8, s[2:3], v3, v3, v2
	v_rcp_f32_e32 v9, v8
	v_lshl_add_u64 v[4:5], v[6:7], 2, s[28:29]
	v_mov_b32_e32 v17, v3
	v_fma_f32 v6, -v8, v9, 1.0
	v_fmac_f32_e32 v9, v6, v9
	v_div_scale_f32 v6, vcc, v2, v3, v2
	v_mul_f32_e32 v7, v6, v9
	v_fma_f32 v10, -v8, v7, v6
	v_fmac_f32_e32 v7, v10, v9
	v_fma_f32 v6, -v8, v7, v6
	v_div_fmas_f32 v6, v6, v9, v7
	v_div_fixup_f32 v6, v6, v3, v2
	s_cselect_b64 vcc, -1, 0
	v_cndmask_b32_e32 v2, v2, v6, vcc
	global_store_dword v[4:5], v2, off
.LBB9_65:
	s_or_b64 exec, exec, s[0:1]
	s_branch .LBB9_67
.LBB9_66:
	v_mov_b32_e32 v1, v65
.LBB9_67:
	v_mov_b64_e32 v[64:65], v[0:1]
.LBB9_68:
	s_load_dword s0, s[8:9], 0x4
	v_cmp_gt_u32_e32 vcc, 2, v71
	v_or_b32_e32 v0, s33, v70
	s_waitcnt lgkmcnt(0)
	s_cmp_lg_u32 s0, 1
	s_cselect_b64 s[2:3], -1, 0
	s_and_b64 s[2:3], s[2:3], vcc
	v_cmp_gt_i32_e32 vcc, s34, v0
	s_and_b64 s[2:3], s[2:3], vcc
	s_and_saveexec_b64 s[6:7], s[2:3]
	s_cbranch_execz .LBB9_70
; %bb.69:
	v_add_u32_e32 v0, s64, v0
	v_mul_lo_u32 v0, v0, s35
	v_add_u32_e32 v0, s36, v0
	v_mul_lo_u32 v0, s0, v0
	v_mov_b32_e32 v2, s30
	v_mov_b32_e32 v3, s31
	v_cmp_eq_u32_e32 vcc, 1, v71
	v_add_u32_e32 v0, s5, v0
	v_mov_b32_e32 v1, 0
	v_cndmask_b32_e32 v4, v64, v65, vcc
	v_cndmask_b32_e32 v5, v16, v17, vcc
	v_lshl_add_u64 v[0:1], v[0:1], 3, v[2:3]
	global_store_dwordx2 v[0:1], v[4:5], off
.LBB9_70:
	s_endpgm
	.section	.rodata,"a",@progbits
	.p2align	6, 0x0
	.amdhsa_kernel _ZL18flash_attn_ext_vecILi64ELi2EL9ggml_type3ELS0_30ELb0EEvPKcS2_S2_S2_S2_PKiPfP15HIP_vector_typeIfLj2EEffffjfiS6_IjLj3EEiiiiiiiiiiiliiliiiiil
		.amdhsa_group_segment_fixed_size 6656
		.amdhsa_private_segment_fixed_size 0
		.amdhsa_kernarg_size 464
		.amdhsa_user_sgpr_count 4
		.amdhsa_user_sgpr_dispatch_ptr 1
		.amdhsa_user_sgpr_queue_ptr 0
		.amdhsa_user_sgpr_kernarg_segment_ptr 1
		.amdhsa_user_sgpr_dispatch_id 0
		.amdhsa_user_sgpr_kernarg_preload_length 0
		.amdhsa_user_sgpr_kernarg_preload_offset 0
		.amdhsa_user_sgpr_private_segment_size 0
		.amdhsa_uses_dynamic_stack 0
		.amdhsa_enable_private_segment 0
		.amdhsa_system_sgpr_workgroup_id_x 1
		.amdhsa_system_sgpr_workgroup_id_y 1
		.amdhsa_system_sgpr_workgroup_id_z 1
		.amdhsa_system_sgpr_workgroup_info 0
		.amdhsa_system_vgpr_workitem_id 2
		.amdhsa_next_free_vgpr 120
		.amdhsa_next_free_sgpr 73
		.amdhsa_accum_offset 120
		.amdhsa_reserve_vcc 1
		.amdhsa_float_round_mode_32 0
		.amdhsa_float_round_mode_16_64 0
		.amdhsa_float_denorm_mode_32 3
		.amdhsa_float_denorm_mode_16_64 3
		.amdhsa_dx10_clamp 1
		.amdhsa_ieee_mode 1
		.amdhsa_fp16_overflow 0
		.amdhsa_tg_split 0
		.amdhsa_exception_fp_ieee_invalid_op 0
		.amdhsa_exception_fp_denorm_src 0
		.amdhsa_exception_fp_ieee_div_zero 0
		.amdhsa_exception_fp_ieee_overflow 0
		.amdhsa_exception_fp_ieee_underflow 0
		.amdhsa_exception_fp_ieee_inexact 0
		.amdhsa_exception_int_div_zero 0
	.end_amdhsa_kernel
	.section	.text._ZL18flash_attn_ext_vecILi64ELi2EL9ggml_type3ELS0_30ELb0EEvPKcS2_S2_S2_S2_PKiPfP15HIP_vector_typeIfLj2EEffffjfiS6_IjLj3EEiiiiiiiiiiiliiliiiiil,"axG",@progbits,_ZL18flash_attn_ext_vecILi64ELi2EL9ggml_type3ELS0_30ELb0EEvPKcS2_S2_S2_S2_PKiPfP15HIP_vector_typeIfLj2EEffffjfiS6_IjLj3EEiiiiiiiiiiiliiliiiiil,comdat
.Lfunc_end9:
	.size	_ZL18flash_attn_ext_vecILi64ELi2EL9ggml_type3ELS0_30ELb0EEvPKcS2_S2_S2_S2_PKiPfP15HIP_vector_typeIfLj2EEffffjfiS6_IjLj3EEiiiiiiiiiiiliiliiiiil, .Lfunc_end9-_ZL18flash_attn_ext_vecILi64ELi2EL9ggml_type3ELS0_30ELb0EEvPKcS2_S2_S2_S2_PKiPfP15HIP_vector_typeIfLj2EEffffjfiS6_IjLj3EEiiiiiiiiiiiliiliiiiil
                                        ; -- End function
	.set _ZL18flash_attn_ext_vecILi64ELi2EL9ggml_type3ELS0_30ELb0EEvPKcS2_S2_S2_S2_PKiPfP15HIP_vector_typeIfLj2EEffffjfiS6_IjLj3EEiiiiiiiiiiiliiliiiiil.num_vgpr, 120
	.set _ZL18flash_attn_ext_vecILi64ELi2EL9ggml_type3ELS0_30ELb0EEvPKcS2_S2_S2_S2_PKiPfP15HIP_vector_typeIfLj2EEffffjfiS6_IjLj3EEiiiiiiiiiiiliiliiiiil.num_agpr, 0
	.set _ZL18flash_attn_ext_vecILi64ELi2EL9ggml_type3ELS0_30ELb0EEvPKcS2_S2_S2_S2_PKiPfP15HIP_vector_typeIfLj2EEffffjfiS6_IjLj3EEiiiiiiiiiiiliiliiiiil.numbered_sgpr, 73
	.set _ZL18flash_attn_ext_vecILi64ELi2EL9ggml_type3ELS0_30ELb0EEvPKcS2_S2_S2_S2_PKiPfP15HIP_vector_typeIfLj2EEffffjfiS6_IjLj3EEiiiiiiiiiiiliiliiiiil.num_named_barrier, 0
	.set _ZL18flash_attn_ext_vecILi64ELi2EL9ggml_type3ELS0_30ELb0EEvPKcS2_S2_S2_S2_PKiPfP15HIP_vector_typeIfLj2EEffffjfiS6_IjLj3EEiiiiiiiiiiiliiliiiiil.private_seg_size, 0
	.set _ZL18flash_attn_ext_vecILi64ELi2EL9ggml_type3ELS0_30ELb0EEvPKcS2_S2_S2_S2_PKiPfP15HIP_vector_typeIfLj2EEffffjfiS6_IjLj3EEiiiiiiiiiiiliiliiiiil.uses_vcc, 1
	.set _ZL18flash_attn_ext_vecILi64ELi2EL9ggml_type3ELS0_30ELb0EEvPKcS2_S2_S2_S2_PKiPfP15HIP_vector_typeIfLj2EEffffjfiS6_IjLj3EEiiiiiiiiiiiliiliiiiil.uses_flat_scratch, 0
	.set _ZL18flash_attn_ext_vecILi64ELi2EL9ggml_type3ELS0_30ELb0EEvPKcS2_S2_S2_S2_PKiPfP15HIP_vector_typeIfLj2EEffffjfiS6_IjLj3EEiiiiiiiiiiiliiliiiiil.has_dyn_sized_stack, 0
	.set _ZL18flash_attn_ext_vecILi64ELi2EL9ggml_type3ELS0_30ELb0EEvPKcS2_S2_S2_S2_PKiPfP15HIP_vector_typeIfLj2EEffffjfiS6_IjLj3EEiiiiiiiiiiiliiliiiiil.has_recursion, 0
	.set _ZL18flash_attn_ext_vecILi64ELi2EL9ggml_type3ELS0_30ELb0EEvPKcS2_S2_S2_S2_PKiPfP15HIP_vector_typeIfLj2EEffffjfiS6_IjLj3EEiiiiiiiiiiiliiliiiiil.has_indirect_call, 0
	.section	.AMDGPU.csdata,"",@progbits
; Kernel info:
; codeLenInByte = 11392
; TotalNumSgprs: 79
; NumVgprs: 120
; NumAgprs: 0
; TotalNumVgprs: 120
; ScratchSize: 0
; MemoryBound: 0
; FloatMode: 240
; IeeeMode: 1
; LDSByteSize: 6656 bytes/workgroup (compile time only)
; SGPRBlocks: 9
; VGPRBlocks: 14
; NumSGPRsForWavesPerEU: 79
; NumVGPRsForWavesPerEU: 120
; AccumOffset: 120
; Occupancy: 4
; WaveLimiterHint : 0
; COMPUTE_PGM_RSRC2:SCRATCH_EN: 0
; COMPUTE_PGM_RSRC2:USER_SGPR: 4
; COMPUTE_PGM_RSRC2:TRAP_HANDLER: 0
; COMPUTE_PGM_RSRC2:TGID_X_EN: 1
; COMPUTE_PGM_RSRC2:TGID_Y_EN: 1
; COMPUTE_PGM_RSRC2:TGID_Z_EN: 1
; COMPUTE_PGM_RSRC2:TIDIG_COMP_CNT: 2
; COMPUTE_PGM_RSRC3_GFX90A:ACCUM_OFFSET: 29
; COMPUTE_PGM_RSRC3_GFX90A:TG_SPLIT: 0
	.section	.text._ZL25flash_attn_mask_to_KV_maxILi2EEvPK7__half2Piiii,"axG",@progbits,_ZL25flash_attn_mask_to_KV_maxILi2EEvPK7__half2Piiii,comdat
	.globl	_ZL25flash_attn_mask_to_KV_maxILi2EEvPK7__half2Piiii ; -- Begin function _ZL25flash_attn_mask_to_KV_maxILi2EEvPK7__half2Piiii
	.p2align	8
	.type	_ZL25flash_attn_mask_to_KV_maxILi2EEvPK7__half2Piiii,@function
_ZL25flash_attn_mask_to_KV_maxILi2EEvPK7__half2Piiii: ; @_ZL25flash_attn_mask_to_KV_maxILi2EEvPK7__half2Piiii
; %bb.0:
	s_load_dwordx4 s[4:7], s[0:1], 0x0
	v_cmp_gt_u32_e32 vcc, 32, v0
	s_and_saveexec_b64 s[8:9], vcc
; %bb.1:
	v_lshlrev_b32_e32 v1, 2, v0
	v_mov_b32_e32 v2, 1
	ds_write_b32 v1, v2
; %bb.2:
	s_or_b64 exec, exec, s[8:9]
	s_load_dwordx4 s[8:11], s[0:1], 0x10
	s_load_dword s16, s[0:1], 0x20
	v_and_b32_e32 v2, 31, v0
	v_lshlrev_b32_e32 v4, 2, v2
	v_lshrrev_b32_e32 v1, 3, v0
	s_waitcnt lgkmcnt(0)
	s_mul_i32 s1, s2, s9
	s_mul_i32 s0, s10, s3
	s_lshl_b32 s1, s1, 1
	s_add_i32 s0, s0, s1
	s_ashr_i32 s1, s0, 31
	s_lshl_b64 s[0:1], s[0:1], 2
	s_add_u32 s10, s4, s0
	s_addc_u32 s11, s5, s1
	v_cmp_eq_u32_e64 s[0:1], 0, v2
	v_mbcnt_lo_u32_b32 v2, -1, 0
	v_mbcnt_hi_u32_b32 v5, -1, v2
	v_and_b32_e32 v2, 0x60, v5
	s_lshl_b32 s8, s8, 8
	s_mov_b64 s[12:13], 0
	v_mov_b32_e32 v3, 0
	s_movk_i32 s17, 0x204
	v_add_u32_e32 v6, 32, v2
	v_xor_b32_e32 v7, 16, v5
	v_xor_b32_e32 v8, 8, v5
	;; [unrolled: 1-line block ×5, first 2 shown]
	s_barrier
                                        ; implicit-def: $sgpr4_sgpr5
	s_branch .LBB10_5
.LBB10_3:                               ;   in Loop: Header=BB10_5 Depth=1
	s_or_b64 exec, exec, s[14:15]
	s_waitcnt lgkmcnt(0)
	s_barrier
	ds_read_b32 v16, v4
	s_waitcnt lgkmcnt(0)
	s_barrier
	ds_bpermute_b32 v2, v2, v16
	v_cmp_ne_u32_e32 vcc, 0, v16
	s_waitcnt lgkmcnt(0)
	v_cmp_ne_u32_e64 s[4:5], 0, v2
	s_and_b64 s[4:5], vcc, s[4:5]
	s_nop 0
	v_cndmask_b32_e64 v2, 0, 1, s[4:5]
	ds_bpermute_b32 v2, v12, v2
	s_waitcnt lgkmcnt(0)
	v_cmp_ne_u32_e32 vcc, 0, v2
	s_and_b64 s[4:5], vcc, s[4:5]
	v_cndmask_b32_e64 v2, 0, 1, s[4:5]
	ds_bpermute_b32 v2, v13, v2
	s_waitcnt lgkmcnt(0)
	v_cmp_ne_u32_e32 vcc, 0, v2
	s_and_b64 s[4:5], vcc, s[4:5]
	;; [unrolled: 5-line block ×3, first 2 shown]
	v_cndmask_b32_e64 v2, 0, 1, s[4:5]
	ds_bpermute_b32 v2, v15, v2
	s_xor_b64 s[4:5], s[4:5], -1
	s_waitcnt lgkmcnt(0)
	v_cmp_eq_u32_e32 vcc, 0, v2
	s_or_b64 s[4:5], vcc, s[4:5]
.LBB10_4:                               ;   in Loop: Header=BB10_5 Depth=1
	s_and_b64 s[14:15], exec, s[4:5]
	s_or_b64 s[12:13], s[14:15], s[12:13]
	v_mov_b32_e32 v2, s8
	s_mov_b32 s8, s18
	s_andn2_b64 exec, exec, s[12:13]
	s_cbranch_execz .LBB10_12
.LBB10_5:                               ; =>This Inner Loop Header: Depth=1
	s_add_i32 s18, s8, 0xffffff00
	s_or_b64 s[4:5], s[4:5], exec
	s_cmp_lt_i32 s18, 0
	s_cbranch_scc1 .LBB10_4
; %bb.6:                                ;   in Loop: Header=BB10_5 Depth=1
	s_lshr_b32 s4, s18, 1
	v_add_u32_e32 v2, s4, v0
	v_lshl_add_u64 v[12:13], v[2:3], 2, s[10:11]
	global_load_dword v12, v[12:13], off
	s_waitcnt vmcnt(0)
	v_cmp_class_f16_e64 s[4:5], v12, s17
	v_cmp_class_f16_sdwa s[14:15], v12, s17 src0_sel:WORD_1 src1_sel:DWORD
	s_and_b64 s[14:15], s[4:5], s[14:15]
	v_mov_b32_e32 v12, 0
	s_and_saveexec_b64 s[4:5], s[14:15]
	s_cbranch_execz .LBB10_10
; %bb.7:                                ;   in Loop: Header=BB10_5 Depth=1
	v_add_u32_e32 v12, s9, v2
	v_ashrrev_i32_e32 v13, 31, v12
	v_lshl_add_u64 v[12:13], v[12:13], 2, s[10:11]
	global_load_dword v2, v[12:13], off
	v_mov_b32_e32 v12, 0
	s_waitcnt vmcnt(0)
	v_cmp_class_f16_e64 s[20:21], v2, s17
	s_and_saveexec_b64 s[14:15], s[20:21]
; %bb.8:                                ;   in Loop: Header=BB10_5 Depth=1
	v_cmp_class_f16_sdwa s[20:21], v2, s17 src0_sel:WORD_1 src1_sel:DWORD
	s_nop 1
	v_cndmask_b32_e64 v12, 0, 1, s[20:21]
; %bb.9:                                ;   in Loop: Header=BB10_5 Depth=1
	s_or_b64 exec, exec, s[14:15]
.LBB10_10:                              ;   in Loop: Header=BB10_5 Depth=1
	s_or_b64 exec, exec, s[4:5]
	v_cmp_lt_i32_e32 vcc, v7, v6
	s_nop 1
	v_cndmask_b32_e32 v2, v5, v7, vcc
	v_lshlrev_b32_e32 v2, 2, v2
	ds_bpermute_b32 v13, v2, v12
	v_cmp_ne_u32_e32 vcc, 0, v12
	s_waitcnt lgkmcnt(0)
	v_cmp_ne_u32_e64 s[4:5], 0, v13
	s_and_b64 s[4:5], vcc, s[4:5]
	v_cmp_lt_i32_e32 vcc, v8, v6
	v_cndmask_b32_e64 v13, 0, 1, s[4:5]
	s_nop 0
	v_cndmask_b32_e32 v12, v5, v8, vcc
	v_lshlrev_b32_e32 v12, 2, v12
	ds_bpermute_b32 v13, v12, v13
	s_waitcnt lgkmcnt(0)
	v_cmp_ne_u32_e32 vcc, 0, v13
	s_and_b64 s[4:5], vcc, s[4:5]
	v_cmp_lt_i32_e32 vcc, v9, v6
	v_cndmask_b32_e64 v14, 0, 1, s[4:5]
	s_nop 0
	v_cndmask_b32_e32 v13, v5, v9, vcc
	v_lshlrev_b32_e32 v13, 2, v13
	ds_bpermute_b32 v14, v13, v14
	s_waitcnt lgkmcnt(0)
	v_cmp_ne_u32_e32 vcc, 0, v14
	;; [unrolled: 9-line block ×3, first 2 shown]
	s_and_b64 s[4:5], vcc, s[4:5]
	v_cmp_lt_i32_e32 vcc, v11, v6
	v_cndmask_b32_e64 v16, 0, 1, s[4:5]
	s_nop 0
	v_cndmask_b32_e32 v15, v5, v11, vcc
	v_lshlrev_b32_e32 v15, 2, v15
	ds_bpermute_b32 v16, v15, v16
	s_and_saveexec_b64 s[14:15], s[0:1]
	s_cbranch_execz .LBB10_3
; %bb.11:                               ;   in Loop: Header=BB10_5 Depth=1
	s_waitcnt lgkmcnt(0)
	v_cmp_ne_u32_e32 vcc, 0, v16
	s_and_b64 s[4:5], vcc, s[4:5]
	v_cndmask_b32_e64 v16, 0, 1, s[4:5]
	ds_write_b32 v1, v16
	s_branch .LBB10_3
.LBB10_12:
	s_or_b64 exec, exec, s[12:13]
	v_cmp_eq_u32_e32 vcc, 0, v0
	s_and_saveexec_b64 s[0:1], vcc
	s_cbranch_execz .LBB10_14
; %bb.13:
	s_mul_i32 s0, s16, s3
	s_add_i32 s0, s0, s2
	s_ashr_i32 s1, s0, 31
	s_lshl_b64 s[0:1], s[0:1], 2
	s_add_u32 s0, s6, s0
	s_addc_u32 s1, s7, s1
	v_mov_b32_e32 v0, 0
	global_store_dword v0, v2, s[0:1]
.LBB10_14:
	s_endpgm
	.section	.rodata,"a",@progbits
	.p2align	6, 0x0
	.amdhsa_kernel _ZL25flash_attn_mask_to_KV_maxILi2EEvPK7__half2Piiii
		.amdhsa_group_segment_fixed_size 128
		.amdhsa_private_segment_fixed_size 0
		.amdhsa_kernarg_size 288
		.amdhsa_user_sgpr_count 2
		.amdhsa_user_sgpr_dispatch_ptr 0
		.amdhsa_user_sgpr_queue_ptr 0
		.amdhsa_user_sgpr_kernarg_segment_ptr 1
		.amdhsa_user_sgpr_dispatch_id 0
		.amdhsa_user_sgpr_kernarg_preload_length 0
		.amdhsa_user_sgpr_kernarg_preload_offset 0
		.amdhsa_user_sgpr_private_segment_size 0
		.amdhsa_uses_dynamic_stack 0
		.amdhsa_enable_private_segment 0
		.amdhsa_system_sgpr_workgroup_id_x 1
		.amdhsa_system_sgpr_workgroup_id_y 1
		.amdhsa_system_sgpr_workgroup_id_z 0
		.amdhsa_system_sgpr_workgroup_info 0
		.amdhsa_system_vgpr_workitem_id 0
		.amdhsa_next_free_vgpr 17
		.amdhsa_next_free_sgpr 22
		.amdhsa_accum_offset 20
		.amdhsa_reserve_vcc 1
		.amdhsa_float_round_mode_32 0
		.amdhsa_float_round_mode_16_64 0
		.amdhsa_float_denorm_mode_32 3
		.amdhsa_float_denorm_mode_16_64 3
		.amdhsa_dx10_clamp 1
		.amdhsa_ieee_mode 1
		.amdhsa_fp16_overflow 0
		.amdhsa_tg_split 0
		.amdhsa_exception_fp_ieee_invalid_op 0
		.amdhsa_exception_fp_denorm_src 0
		.amdhsa_exception_fp_ieee_div_zero 0
		.amdhsa_exception_fp_ieee_overflow 0
		.amdhsa_exception_fp_ieee_underflow 0
		.amdhsa_exception_fp_ieee_inexact 0
		.amdhsa_exception_int_div_zero 0
	.end_amdhsa_kernel
	.section	.text._ZL25flash_attn_mask_to_KV_maxILi2EEvPK7__half2Piiii,"axG",@progbits,_ZL25flash_attn_mask_to_KV_maxILi2EEvPK7__half2Piiii,comdat
.Lfunc_end10:
	.size	_ZL25flash_attn_mask_to_KV_maxILi2EEvPK7__half2Piiii, .Lfunc_end10-_ZL25flash_attn_mask_to_KV_maxILi2EEvPK7__half2Piiii
                                        ; -- End function
	.set _ZL25flash_attn_mask_to_KV_maxILi2EEvPK7__half2Piiii.num_vgpr, 17
	.set _ZL25flash_attn_mask_to_KV_maxILi2EEvPK7__half2Piiii.num_agpr, 0
	.set _ZL25flash_attn_mask_to_KV_maxILi2EEvPK7__half2Piiii.numbered_sgpr, 22
	.set _ZL25flash_attn_mask_to_KV_maxILi2EEvPK7__half2Piiii.num_named_barrier, 0
	.set _ZL25flash_attn_mask_to_KV_maxILi2EEvPK7__half2Piiii.private_seg_size, 0
	.set _ZL25flash_attn_mask_to_KV_maxILi2EEvPK7__half2Piiii.uses_vcc, 1
	.set _ZL25flash_attn_mask_to_KV_maxILi2EEvPK7__half2Piiii.uses_flat_scratch, 0
	.set _ZL25flash_attn_mask_to_KV_maxILi2EEvPK7__half2Piiii.has_dyn_sized_stack, 0
	.set _ZL25flash_attn_mask_to_KV_maxILi2EEvPK7__half2Piiii.has_recursion, 0
	.set _ZL25flash_attn_mask_to_KV_maxILi2EEvPK7__half2Piiii.has_indirect_call, 0
	.section	.AMDGPU.csdata,"",@progbits
; Kernel info:
; codeLenInByte = 836
; TotalNumSgprs: 28
; NumVgprs: 17
; NumAgprs: 0
; TotalNumVgprs: 17
; ScratchSize: 0
; MemoryBound: 0
; FloatMode: 240
; IeeeMode: 1
; LDSByteSize: 128 bytes/workgroup (compile time only)
; SGPRBlocks: 3
; VGPRBlocks: 2
; NumSGPRsForWavesPerEU: 28
; NumVGPRsForWavesPerEU: 17
; AccumOffset: 20
; Occupancy: 8
; WaveLimiterHint : 0
; COMPUTE_PGM_RSRC2:SCRATCH_EN: 0
; COMPUTE_PGM_RSRC2:USER_SGPR: 2
; COMPUTE_PGM_RSRC2:TRAP_HANDLER: 0
; COMPUTE_PGM_RSRC2:TGID_X_EN: 1
; COMPUTE_PGM_RSRC2:TGID_Y_EN: 1
; COMPUTE_PGM_RSRC2:TGID_Z_EN: 0
; COMPUTE_PGM_RSRC2:TIDIG_COMP_CNT: 0
; COMPUTE_PGM_RSRC3_GFX90A:ACCUM_OFFSET: 4
; COMPUTE_PGM_RSRC3_GFX90A:TG_SPLIT: 0
	.section	.text._ZL33flash_attn_stream_k_fixup_uniformILi64ELi2ELi1EEvPfPK15HIP_vector_typeIfLj2EEiiiiiiS1_IjLj3EES5_S5_,"axG",@progbits,_ZL33flash_attn_stream_k_fixup_uniformILi64ELi2ELi1EEvPfPK15HIP_vector_typeIfLj2EEiiiiiiS1_IjLj3EES5_S5_,comdat
	.globl	_ZL33flash_attn_stream_k_fixup_uniformILi64ELi2ELi1EEvPfPK15HIP_vector_typeIfLj2EEiiiiiiS1_IjLj3EES5_S5_ ; -- Begin function _ZL33flash_attn_stream_k_fixup_uniformILi64ELi2ELi1EEvPfPK15HIP_vector_typeIfLj2EEiiiiiiS1_IjLj3EES5_S5_
	.p2align	8
	.type	_ZL33flash_attn_stream_k_fixup_uniformILi64ELi2ELi1EEvPfPK15HIP_vector_typeIfLj2EEiiiiiiS1_IjLj3EES5_S5_,@function
_ZL33flash_attn_stream_k_fixup_uniformILi64ELi2ELi1EEvPfPK15HIP_vector_typeIfLj2EEiiiiiiS1_IjLj3EES5_S5_: ; @_ZL33flash_attn_stream_k_fixup_uniformILi64ELi2ELi1EEvPfPK15HIP_vector_typeIfLj2EEiiiiiiS1_IjLj3EES5_S5_
; %bb.0:
	s_load_dwordx8 s[8:15], s[0:1], 0x1c
	s_load_dwordx2 s[6:7], s[0:1], 0x10
	s_load_dwordx4 s[20:23], s[0:1], 0x3c
	s_waitcnt lgkmcnt(0)
	s_mul_hi_u32 s5, s11, s2
	s_add_i32 s5, s2, s5
	s_lshr_b32 s5, s5, s12
	s_mul_i32 s11, s5, s13
	s_sub_i32 s11, s2, s11
	s_mul_hi_u32 s12, s11, s14
	s_add_i32 s12, s11, s12
	s_lshr_b32 s16, s12, s15
	s_mul_i32 s12, s16, s20
	s_sub_i32 s12, s11, s12
	;; [unrolled: 5-line block ×3, first 2 shown]
	s_lshl_b32 s12, s17, 1
	s_add_i32 s12, s12, s3
	s_cmp_lt_i32 s12, s6
	s_cselect_b64 s[12:13], -1, 0
	s_add_i32 s14, s11, s4
	s_cmp_lt_i32 s14, s9
	s_cselect_b64 s[14:15], -1, 0
	s_and_b64 s[12:13], s[12:13], s[14:15]
	s_andn2_b64 vcc, exec, s[12:13]
	s_cbranch_vccnz .LBB11_6
; %bb.1:
	s_load_dwordx4 s[12:15], s[0:1], 0x0
	s_mul_i32 s0, s5, s6
	s_add_i32 s0, s0, s3
	s_mul_i32 s0, s0, s7
	s_mul_i32 s16, s16, s9
	s_add_i32 s0, s0, s4
	s_add_i32 s0, s0, s16
	s_mul_i32 s1, s7, s17
	s_add_i32 s0, s0, s11
	s_lshl_b32 s1, s1, 7
	s_lshl_b32 s0, s0, 6
	s_add_i32 s1, s1, s0
	v_or_b32_e32 v4, s1, v0
	s_waitcnt lgkmcnt(0)
	v_mov_b32_e32 v2, s12
	v_mov_b32_e32 v3, s13
	v_ashrrev_i32_e32 v5, 31, v4
	v_lshl_add_u64 v[2:3], v[4:5], 2, v[2:3]
	global_load_dword v5, v[2:3], off
	s_mul_i32 s6, s10, s2
	s_add_i32 s7, s6, s10
	s_add_i32 s3, s3, s4
	s_lshl_b32 s0, s7, 1
	s_add_i32 s0, s3, s0
	s_add_i32 s0, s0, -2
	s_ashr_i32 s1, s0, 31
	s_lshl_b64 s[0:1], s[0:1], 3
	s_add_u32 s0, s14, s0
	s_addc_u32 s1, s15, s1
	s_load_dword s9, s[0:1], 0x4
	s_add_i32 s4, s7, -2
	s_cmp_lt_i32 s4, s6
	s_cbranch_scc1 .LBB11_4
; %bb.2:
	s_lshl_b32 s4, s8, 3
	s_ashr_i32 s5, s4, 31
	s_lshl_b64 s[4:5], s[4:5], 2
	s_add_u32 s4, s14, s4
	s_addc_u32 s5, s15, s5
	s_add_i32 s2, s2, 1
	s_mul_i32 s2, s10, s2
	s_load_dword s0, s[0:1], 0x0
	s_lshl_b32 s1, s3, 6
	s_lshl_b32 s10, s2, 7
	s_add_i32 s1, s1, s10
	v_or_b32_e32 v0, s1, v0
	s_lshl_b32 s1, s2, 1
	s_add_i32 s1, s3, s1
	s_lshl_b32 s2, s8, 1
	s_add_i32 s1, s1, s2
	s_add_i32 s7, s7, -1
	v_add_u32_e32 v0, 0xffffff00, v0
	s_add_i32 s2, s1, -4
	s_waitcnt lgkmcnt(0)
	v_mov_b32_e32 v7, s0
	v_mov_b32_e32 v4, s9
	s_mov_b32 s8, 0x3fb8aa3b
	s_mov_b32 s9, 0xc2ce8ed0
	;; [unrolled: 1-line block ×3, first 2 shown]
	v_mov_b32_e32 v6, 0x7f800000
	s_mov_b32 s11, 0xc1a00000
.LBB11_3:                               ; =>This Inner Loop Header: Depth=1
	v_ashrrev_i32_e32 v1, 31, v0
	v_lshl_add_u64 v[8:9], v[0:1], 2, s[4:5]
	global_load_dword v9, v[8:9], off
	s_ashr_i32 s3, s2, 31
	s_lshl_b64 s[0:1], s[2:3], 3
	s_add_u32 s0, s14, s0
	s_addc_u32 s1, s15, s1
	s_load_dwordx2 s[0:1], s[0:1], 0x0
	v_max_f32_e32 v1, v7, v7
	s_add_i32 s7, s7, -1
	s_add_i32 s2, s2, -2
	v_add_u32_e32 v0, 0xffffff80, v0
	s_waitcnt lgkmcnt(0)
	v_max_f32_e64 v10, s0, s0
	v_max_f32_e32 v1, v1, v10
	v_sub_f32_e32 v11, s0, v1
	v_sub_f32_e32 v10, v7, v1
	v_mul_f32_e32 v12, 0x3fb8aa3b, v11
	v_mov_b32_e32 v7, v1
	v_mul_f32_e32 v1, 0x3fb8aa3b, v10
	v_fma_f32 v15, v11, s8, -v12
	v_rndne_f32_e32 v16, v12
	v_fma_f32 v13, v10, s8, -v1
	v_rndne_f32_e32 v14, v1
	v_fmac_f32_e32 v15, 0x32a5705f, v11
	v_sub_f32_e32 v12, v12, v16
	v_fmac_f32_e32 v13, 0x32a5705f, v10
	v_sub_f32_e32 v1, v1, v14
	v_add_f32_e32 v12, v12, v15
	v_cvt_i32_f32_e32 v16, v16
	v_add_f32_e32 v1, v1, v13
	v_exp_f32_e32 v12, v12
	v_cvt_i32_f32_e32 v14, v14
	v_exp_f32_e32 v1, v1
	v_cmp_ngt_f32_e32 vcc, s9, v11
	v_ldexp_f32 v12, v12, v16
	v_mov_b32_e32 v8, s1
	v_ldexp_f32 v1, v1, v14
	v_cmp_ngt_f32_e64 s[0:1], s9, v10
	v_cndmask_b32_e32 v12, 0, v12, vcc
	v_cmp_nlt_f32_e32 vcc, s10, v11
	v_cndmask_b32_e64 v1, 0, v1, s[0:1]
	v_cmp_nlt_f32_e64 s[0:1], s10, v10
	v_cndmask_b32_e32 v12, v6, v12, vcc
	v_cmp_le_f32_e32 vcc, s11, v11
	v_cndmask_b32_e64 v1, v6, v1, s[0:1]
	v_cmp_le_f32_e64 s[0:1], s11, v10
	v_cndmask_b32_e32 v12, 0, v12, vcc
	s_cmp_le_i32 s7, s6
	v_cndmask_b32_e64 v10, 0, v1, s[0:1]
	s_waitcnt vmcnt(0)
	v_pk_mul_f32 v[8:9], v[8:9], v[12:13] op_sel_hi:[1,0]
	s_nop 0
	v_pk_fma_f32 v[4:5], v[4:5], v[10:11], v[8:9] op_sel_hi:[1,0,1]
	s_cbranch_scc0 .LBB11_3
	s_branch .LBB11_5
.LBB11_4:
	s_waitcnt lgkmcnt(0)
	v_mov_b32_e32 v4, s9
.LBB11_5:
	s_waitcnt vmcnt(0)
	v_div_scale_f32 v0, s[0:1], v4, v4, v5
	v_rcp_f32_e32 v1, v0
	v_div_scale_f32 v6, vcc, v5, v4, v5
	v_fma_f32 v7, -v0, v1, 1.0
	v_fmac_f32_e32 v1, v7, v1
	v_mul_f32_e32 v7, v6, v1
	v_fma_f32 v8, -v0, v7, v6
	v_fmac_f32_e32 v7, v8, v1
	v_fma_f32 v0, -v0, v7, v6
	v_div_fmas_f32 v0, v0, v1, v7
	v_div_fixup_f32 v0, v0, v4, v5
	global_store_dword v[2:3], v0, off
.LBB11_6:
	s_endpgm
	.section	.rodata,"a",@progbits
	.p2align	6, 0x0
	.amdhsa_kernel _ZL33flash_attn_stream_k_fixup_uniformILi64ELi2ELi1EEvPfPK15HIP_vector_typeIfLj2EEiiiiiiS1_IjLj3EES5_S5_
		.amdhsa_group_segment_fixed_size 0
		.amdhsa_private_segment_fixed_size 0
		.amdhsa_kernarg_size 76
		.amdhsa_user_sgpr_count 2
		.amdhsa_user_sgpr_dispatch_ptr 0
		.amdhsa_user_sgpr_queue_ptr 0
		.amdhsa_user_sgpr_kernarg_segment_ptr 1
		.amdhsa_user_sgpr_dispatch_id 0
		.amdhsa_user_sgpr_kernarg_preload_length 0
		.amdhsa_user_sgpr_kernarg_preload_offset 0
		.amdhsa_user_sgpr_private_segment_size 0
		.amdhsa_uses_dynamic_stack 0
		.amdhsa_enable_private_segment 0
		.amdhsa_system_sgpr_workgroup_id_x 1
		.amdhsa_system_sgpr_workgroup_id_y 1
		.amdhsa_system_sgpr_workgroup_id_z 1
		.amdhsa_system_sgpr_workgroup_info 0
		.amdhsa_system_vgpr_workitem_id 0
		.amdhsa_next_free_vgpr 17
		.amdhsa_next_free_sgpr 24
		.amdhsa_accum_offset 20
		.amdhsa_reserve_vcc 1
		.amdhsa_float_round_mode_32 0
		.amdhsa_float_round_mode_16_64 0
		.amdhsa_float_denorm_mode_32 3
		.amdhsa_float_denorm_mode_16_64 3
		.amdhsa_dx10_clamp 1
		.amdhsa_ieee_mode 1
		.amdhsa_fp16_overflow 0
		.amdhsa_tg_split 0
		.amdhsa_exception_fp_ieee_invalid_op 0
		.amdhsa_exception_fp_denorm_src 0
		.amdhsa_exception_fp_ieee_div_zero 0
		.amdhsa_exception_fp_ieee_overflow 0
		.amdhsa_exception_fp_ieee_underflow 0
		.amdhsa_exception_fp_ieee_inexact 0
		.amdhsa_exception_int_div_zero 0
	.end_amdhsa_kernel
	.section	.text._ZL33flash_attn_stream_k_fixup_uniformILi64ELi2ELi1EEvPfPK15HIP_vector_typeIfLj2EEiiiiiiS1_IjLj3EES5_S5_,"axG",@progbits,_ZL33flash_attn_stream_k_fixup_uniformILi64ELi2ELi1EEvPfPK15HIP_vector_typeIfLj2EEiiiiiiS1_IjLj3EES5_S5_,comdat
.Lfunc_end11:
	.size	_ZL33flash_attn_stream_k_fixup_uniformILi64ELi2ELi1EEvPfPK15HIP_vector_typeIfLj2EEiiiiiiS1_IjLj3EES5_S5_, .Lfunc_end11-_ZL33flash_attn_stream_k_fixup_uniformILi64ELi2ELi1EEvPfPK15HIP_vector_typeIfLj2EEiiiiiiS1_IjLj3EES5_S5_
                                        ; -- End function
	.set _ZL33flash_attn_stream_k_fixup_uniformILi64ELi2ELi1EEvPfPK15HIP_vector_typeIfLj2EEiiiiiiS1_IjLj3EES5_S5_.num_vgpr, 17
	.set _ZL33flash_attn_stream_k_fixup_uniformILi64ELi2ELi1EEvPfPK15HIP_vector_typeIfLj2EEiiiiiiS1_IjLj3EES5_S5_.num_agpr, 0
	.set _ZL33flash_attn_stream_k_fixup_uniformILi64ELi2ELi1EEvPfPK15HIP_vector_typeIfLj2EEiiiiiiS1_IjLj3EES5_S5_.numbered_sgpr, 24
	.set _ZL33flash_attn_stream_k_fixup_uniformILi64ELi2ELi1EEvPfPK15HIP_vector_typeIfLj2EEiiiiiiS1_IjLj3EES5_S5_.num_named_barrier, 0
	.set _ZL33flash_attn_stream_k_fixup_uniformILi64ELi2ELi1EEvPfPK15HIP_vector_typeIfLj2EEiiiiiiS1_IjLj3EES5_S5_.private_seg_size, 0
	.set _ZL33flash_attn_stream_k_fixup_uniformILi64ELi2ELi1EEvPfPK15HIP_vector_typeIfLj2EEiiiiiiS1_IjLj3EES5_S5_.uses_vcc, 1
	.set _ZL33flash_attn_stream_k_fixup_uniformILi64ELi2ELi1EEvPfPK15HIP_vector_typeIfLj2EEiiiiiiS1_IjLj3EES5_S5_.uses_flat_scratch, 0
	.set _ZL33flash_attn_stream_k_fixup_uniformILi64ELi2ELi1EEvPfPK15HIP_vector_typeIfLj2EEiiiiiiS1_IjLj3EES5_S5_.has_dyn_sized_stack, 0
	.set _ZL33flash_attn_stream_k_fixup_uniformILi64ELi2ELi1EEvPfPK15HIP_vector_typeIfLj2EEiiiiiiS1_IjLj3EES5_S5_.has_recursion, 0
	.set _ZL33flash_attn_stream_k_fixup_uniformILi64ELi2ELi1EEvPfPK15HIP_vector_typeIfLj2EEiiiiiiS1_IjLj3EES5_S5_.has_indirect_call, 0
	.section	.AMDGPU.csdata,"",@progbits
; Kernel info:
; codeLenInByte = 816
; TotalNumSgprs: 30
; NumVgprs: 17
; NumAgprs: 0
; TotalNumVgprs: 17
; ScratchSize: 0
; MemoryBound: 0
; FloatMode: 240
; IeeeMode: 1
; LDSByteSize: 0 bytes/workgroup (compile time only)
; SGPRBlocks: 3
; VGPRBlocks: 2
; NumSGPRsForWavesPerEU: 30
; NumVGPRsForWavesPerEU: 17
; AccumOffset: 20
; Occupancy: 8
; WaveLimiterHint : 0
; COMPUTE_PGM_RSRC2:SCRATCH_EN: 0
; COMPUTE_PGM_RSRC2:USER_SGPR: 2
; COMPUTE_PGM_RSRC2:TRAP_HANDLER: 0
; COMPUTE_PGM_RSRC2:TGID_X_EN: 1
; COMPUTE_PGM_RSRC2:TGID_Y_EN: 1
; COMPUTE_PGM_RSRC2:TGID_Z_EN: 1
; COMPUTE_PGM_RSRC2:TIDIG_COMP_CNT: 0
; COMPUTE_PGM_RSRC3_GFX90A:ACCUM_OFFSET: 4
; COMPUTE_PGM_RSRC3_GFX90A:TG_SPLIT: 0
	.section	.text._ZL33flash_attn_stream_k_fixup_generalILi64ELi2ELi1EEvPfPK15HIP_vector_typeIfLj2EEiiiiS1_IjLj3EES5_S5_S5_,"axG",@progbits,_ZL33flash_attn_stream_k_fixup_generalILi64ELi2ELi1EEvPfPK15HIP_vector_typeIfLj2EEiiiiS1_IjLj3EES5_S5_S5_,comdat
	.globl	_ZL33flash_attn_stream_k_fixup_generalILi64ELi2ELi1EEvPfPK15HIP_vector_typeIfLj2EEiiiiS1_IjLj3EES5_S5_S5_ ; -- Begin function _ZL33flash_attn_stream_k_fixup_generalILi64ELi2ELi1EEvPfPK15HIP_vector_typeIfLj2EEiiiiS1_IjLj3EES5_S5_S5_
	.p2align	8
	.type	_ZL33flash_attn_stream_k_fixup_generalILi64ELi2ELi1EEvPfPK15HIP_vector_typeIfLj2EEiiiiS1_IjLj3EES5_S5_S5_,@function
_ZL33flash_attn_stream_k_fixup_generalILi64ELi2ELi1EEvPfPK15HIP_vector_typeIfLj2EEiiiiS1_IjLj3EES5_S5_S5_: ; @_ZL33flash_attn_stream_k_fixup_generalILi64ELi2ELi1EEvPfPK15HIP_vector_typeIfLj2EEiiiiS1_IjLj3EES5_S5_S5_
; %bb.0:
	s_load_dwordx4 s[8:11], s[0:1], 0x10
	s_load_dword s22, s[0:1], 0x50
	s_mov_b32 s12, 0
	s_waitcnt lgkmcnt(0)
	s_mul_hi_i32 s13, s11, s2
	s_cmp_lg_u64 s[12:13], 0
	s_mul_i32 s5, s11, s2
	s_cbranch_scc0 .LBB12_20
; %bb.1:
	s_add_u32 s6, s22, 0
	s_addc_u32 s7, 0, 0
	s_xor_b64 s[6:7], s[6:7], 0
	v_cvt_f32_u32_e32 v1, s6
	v_cvt_f32_u32_e32 v2, s7
	s_sub_u32 s12, 0, s6
	s_subb_u32 s18, 0, s7
	v_fmamk_f32 v1, v2, 0x4f800000, v1
	v_rcp_f32_e32 v1, v1
	s_nop 0
	v_mul_f32_e32 v1, 0x5f7ffffc, v1
	v_mul_f32_e32 v2, 0x2f800000, v1
	v_trunc_f32_e32 v2, v2
	v_fmamk_f32 v1, v2, 0xcf800000, v1
	v_cvt_u32_f32_e32 v2, v2
	v_cvt_u32_f32_e32 v1, v1
	v_readfirstlane_b32 s19, v2
	v_readfirstlane_b32 s14, v1
	s_mul_i32 s15, s12, s19
	s_mul_hi_u32 s21, s12, s14
	s_mul_i32 s20, s18, s14
	s_add_i32 s15, s21, s15
	s_add_i32 s15, s15, s20
	s_mul_i32 s23, s12, s14
	s_mul_i32 s21, s14, s15
	s_mul_hi_u32 s24, s14, s23
	s_mul_hi_u32 s20, s14, s15
	s_add_u32 s21, s24, s21
	s_addc_u32 s20, 0, s20
	s_mul_hi_u32 s25, s19, s23
	s_mul_i32 s23, s19, s23
	s_add_u32 s21, s21, s23
	s_mul_hi_u32 s24, s19, s15
	s_addc_u32 s20, s20, s25
	s_addc_u32 s21, s24, 0
	s_mul_i32 s15, s19, s15
	s_add_u32 s15, s20, s15
	s_addc_u32 s20, 0, s21
	s_add_u32 s21, s14, s15
	s_cselect_b64 s[14:15], -1, 0
	s_cmp_lg_u64 s[14:15], 0
	s_addc_u32 s19, s19, s20
	s_mul_i32 s14, s12, s19
	s_mul_hi_u32 s15, s12, s21
	s_add_i32 s14, s15, s14
	s_mul_i32 s18, s18, s21
	s_add_i32 s14, s14, s18
	s_mul_i32 s12, s12, s21
	s_mul_hi_u32 s18, s19, s12
	s_mul_i32 s20, s19, s12
	s_mul_i32 s24, s21, s14
	s_mul_hi_u32 s12, s21, s12
	s_mul_hi_u32 s23, s21, s14
	s_add_u32 s12, s12, s24
	s_addc_u32 s23, 0, s23
	s_add_u32 s12, s12, s20
	s_mul_hi_u32 s15, s19, s14
	s_addc_u32 s12, s23, s18
	s_addc_u32 s15, s15, 0
	s_mul_i32 s14, s19, s14
	s_add_u32 s12, s12, s14
	s_addc_u32 s18, 0, s15
	s_add_u32 s20, s21, s12
	s_cselect_b64 s[14:15], -1, 0
	s_cmp_lg_u64 s[14:15], 0
	s_addc_u32 s18, s19, s18
	s_ashr_i32 s14, s13, 31
	s_add_u32 s12, s5, s14
	s_mov_b32 s15, s14
	s_addc_u32 s13, s13, s14
	s_xor_b64 s[12:13], s[12:13], s[14:15]
	s_mul_i32 s21, s12, s18
	s_mul_hi_u32 s23, s12, s20
	s_mul_hi_u32 s19, s12, s18
	s_add_u32 s21, s23, s21
	s_addc_u32 s19, 0, s19
	s_mul_hi_u32 s24, s13, s20
	s_mul_i32 s20, s13, s20
	s_add_u32 s20, s21, s20
	s_mul_hi_u32 s23, s13, s18
	s_addc_u32 s19, s19, s24
	s_addc_u32 s20, s23, 0
	s_mul_i32 s18, s13, s18
	s_add_u32 s23, s19, s18
	s_addc_u32 s24, 0, s20
	s_mul_i32 s18, s6, s24
	s_mul_hi_u32 s19, s6, s23
	s_add_i32 s18, s19, s18
	s_mul_i32 s19, s7, s23
	s_add_i32 s25, s18, s19
	s_sub_i32 s20, s13, s25
	s_mul_i32 s18, s6, s23
	s_sub_u32 s12, s12, s18
	s_cselect_b64 s[18:19], -1, 0
	s_cmp_lg_u64 s[18:19], 0
	s_subb_u32 s26, s20, s7
	s_sub_u32 s27, s12, s6
	s_cselect_b64 s[20:21], -1, 0
	s_cmp_lg_u64 s[20:21], 0
	s_subb_u32 s20, s26, 0
	s_cmp_ge_u32 s20, s7
	s_cselect_b32 s21, -1, 0
	s_cmp_ge_u32 s27, s6
	s_cselect_b32 s26, -1, 0
	s_cmp_eq_u32 s20, s7
	s_cselect_b32 s20, s26, s21
	s_add_u32 s21, s23, 1
	s_addc_u32 s26, s24, 0
	s_add_u32 s27, s23, 2
	s_addc_u32 s28, s24, 0
	s_cmp_lg_u32 s20, 0
	s_cselect_b32 s20, s27, s21
	s_cselect_b32 s21, s28, s26
	s_cmp_lg_u64 s[18:19], 0
	s_subb_u32 s13, s13, s25
	s_cmp_ge_u32 s13, s7
	s_cselect_b32 s18, -1, 0
	s_cmp_ge_u32 s12, s6
	s_cselect_b32 s6, -1, 0
	s_cmp_eq_u32 s13, s7
	s_cselect_b32 s6, s6, s18
	s_cmp_lg_u32 s6, 0
	s_cselect_b32 s7, s21, s24
	s_cselect_b32 s6, s20, s23
	s_xor_b64 s[12:13], s[14:15], 0
	s_xor_b64 s[6:7], s[6:7], s[12:13]
	s_sub_u32 s6, s6, s12
	s_load_dwordx4 s[12:15], s[0:1], 0x44
	s_cbranch_execnz .LBB12_3
.LBB12_2:
	v_cvt_f32_u32_e32 v1, s22
	s_sub_i32 s6, 0, s22
	v_rcp_iflag_f32_e32 v1, v1
	s_nop 0
	v_mul_f32_e32 v1, 0x4f7ffffe, v1
	v_cvt_u32_f32_e32 v1, v1
	s_nop 0
	v_readfirstlane_b32 s7, v1
	s_mul_i32 s6, s6, s7
	s_mul_hi_u32 s6, s7, s6
	s_add_i32 s7, s7, s6
	s_mul_hi_u32 s6, s5, s7
	s_waitcnt lgkmcnt(0)
	s_mul_i32 s15, s6, s22
	s_sub_i32 s5, s5, s15
	s_add_i32 s7, s6, 1
	s_sub_i32 s15, s5, s22
	s_cmp_ge_u32 s5, s22
	s_cselect_b32 s6, s7, s6
	s_cselect_b32 s5, s15, s5
	s_add_i32 s7, s6, 1
	s_cmp_ge_u32 s5, s22
	s_cselect_b32 s6, s7, s6
.LBB12_3:
	s_add_i32 s5, s2, 1
	s_mul_hi_i32 s21, s11, s5
	s_mov_b32 s20, 0
	s_cmp_lg_u64 s[20:21], 0
	s_mul_i32 s5, s11, s5
	s_cbranch_scc0 .LBB12_21
; %bb.4:
	s_add_u32 s16, s22, 0
	s_addc_u32 s17, 0, 0
	s_xor_b64 s[18:19], s[16:17], 0
	v_cvt_f32_u32_e32 v1, s18
	v_cvt_f32_u32_e32 v2, s19
	s_sub_u32 s7, 0, s18
	s_waitcnt lgkmcnt(0)
	s_subb_u32 s15, 0, s19
	v_fmamk_f32 v1, v2, 0x4f800000, v1
	v_rcp_f32_e32 v1, v1
	s_nop 0
	v_mul_f32_e32 v1, 0x5f7ffffc, v1
	v_mul_f32_e32 v2, 0x2f800000, v1
	v_trunc_f32_e32 v2, v2
	v_fmamk_f32 v1, v2, 0xcf800000, v1
	v_cvt_u32_f32_e32 v2, v2
	v_cvt_u32_f32_e32 v1, v1
	v_readfirstlane_b32 s20, v2
	v_readfirstlane_b32 s23, v1
	s_mul_i32 s24, s7, s20
	s_mul_hi_u32 s26, s7, s23
	s_mul_i32 s25, s15, s23
	s_add_i32 s24, s26, s24
	s_add_i32 s24, s24, s25
	s_mul_i32 s27, s7, s23
	s_mul_i32 s26, s23, s24
	s_mul_hi_u32 s28, s23, s27
	s_mul_hi_u32 s25, s23, s24
	s_add_u32 s26, s28, s26
	s_addc_u32 s25, 0, s25
	s_mul_hi_u32 s29, s20, s27
	s_mul_i32 s27, s20, s27
	s_add_u32 s26, s26, s27
	s_mul_hi_u32 s28, s20, s24
	s_addc_u32 s25, s25, s29
	s_addc_u32 s26, s28, 0
	s_mul_i32 s24, s20, s24
	s_add_u32 s24, s25, s24
	s_addc_u32 s26, 0, s26
	s_add_u32 s23, s23, s24
	s_cselect_b64 s[24:25], -1, 0
	s_cmp_lg_u64 s[24:25], 0
	s_addc_u32 s20, s20, s26
	s_mul_i32 s24, s7, s20
	s_mul_hi_u32 s25, s7, s23
	s_add_i32 s24, s25, s24
	s_mul_i32 s15, s15, s23
	s_add_i32 s24, s24, s15
	s_mul_i32 s7, s7, s23
	s_mul_hi_u32 s25, s20, s7
	s_mul_i32 s26, s20, s7
	s_mul_i32 s28, s23, s24
	s_mul_hi_u32 s7, s23, s7
	s_mul_hi_u32 s27, s23, s24
	s_add_u32 s7, s7, s28
	s_addc_u32 s27, 0, s27
	s_add_u32 s7, s7, s26
	s_mul_hi_u32 s15, s20, s24
	s_addc_u32 s7, s27, s25
	s_addc_u32 s15, s15, 0
	s_mul_i32 s24, s20, s24
	s_add_u32 s7, s7, s24
	s_addc_u32 s15, 0, s15
	s_add_u32 s7, s23, s7
	s_cselect_b64 s[24:25], -1, 0
	s_cmp_lg_u64 s[24:25], 0
	s_addc_u32 s15, s20, s15
	s_ashr_i32 s24, s21, 31
	s_add_u32 s20, s5, s24
	s_mov_b32 s25, s24
	s_addc_u32 s21, s21, s24
	s_xor_b64 s[20:21], s[20:21], s[24:25]
	s_mul_i32 s26, s20, s15
	s_mul_hi_u32 s27, s20, s7
	s_mul_hi_u32 s23, s20, s15
	s_add_u32 s26, s27, s26
	s_addc_u32 s23, 0, s23
	s_mul_hi_u32 s28, s21, s7
	s_mul_i32 s7, s21, s7
	s_add_u32 s7, s26, s7
	s_mul_hi_u32 s27, s21, s15
	s_addc_u32 s7, s23, s28
	s_addc_u32 s23, s27, 0
	s_mul_i32 s15, s21, s15
	s_add_u32 s7, s7, s15
	s_addc_u32 s15, 0, s23
	s_mul_i32 s23, s18, s15
	s_mul_hi_u32 s26, s18, s7
	s_add_i32 s23, s26, s23
	s_mul_i32 s26, s19, s7
	s_add_i32 s23, s23, s26
	s_sub_i32 s28, s21, s23
	s_mul_i32 s26, s18, s7
	s_sub_u32 s20, s20, s26
	s_cselect_b64 s[26:27], -1, 0
	s_cmp_lg_u64 s[26:27], 0
	s_subb_u32 s30, s28, s19
	s_sub_u32 s31, s20, s18
	s_cselect_b64 s[28:29], -1, 0
	s_cmp_lg_u64 s[28:29], 0
	s_subb_u32 s28, s30, 0
	s_cmp_ge_u32 s28, s19
	s_cselect_b32 s29, -1, 0
	s_cmp_ge_u32 s31, s18
	s_cselect_b32 s30, -1, 0
	s_cmp_eq_u32 s28, s19
	s_cselect_b32 s28, s30, s29
	s_add_u32 s29, s7, 1
	s_addc_u32 s30, s15, 0
	s_add_u32 s31, s7, 2
	s_addc_u32 s33, s15, 0
	s_cmp_lg_u32 s28, 0
	s_cselect_b32 s28, s31, s29
	s_cselect_b32 s29, s33, s30
	s_cmp_lg_u64 s[26:27], 0
	s_subb_u32 s21, s21, s23
	s_cmp_ge_u32 s21, s19
	s_cselect_b32 s23, -1, 0
	s_cmp_ge_u32 s20, s18
	s_cselect_b32 s18, -1, 0
	s_cmp_eq_u32 s21, s19
	s_cselect_b32 s18, s18, s23
	s_cmp_lg_u32 s18, 0
	s_cselect_b32 s19, s29, s15
	s_cselect_b32 s18, s28, s7
	s_xor_b64 s[20:21], s[24:25], 0
	s_xor_b64 s[18:19], s[18:19], s[20:21]
	s_sub_u32 s18, s18, s20
	s_cbranch_execnz .LBB12_6
.LBB12_5:
	v_cvt_f32_u32_e32 v1, s22
	s_sub_i32 s7, 0, s22
	v_rcp_iflag_f32_e32 v1, v1
	s_nop 0
	v_mul_f32_e32 v1, 0x4f7ffffe, v1
	v_cvt_u32_f32_e32 v1, v1
	s_waitcnt lgkmcnt(0)
	v_readfirstlane_b32 s15, v1
	s_mul_i32 s7, s7, s15
	s_mul_hi_u32 s7, s15, s7
	s_add_i32 s15, s15, s7
	s_mul_hi_u32 s7, s5, s15
	s_mul_i32 s16, s7, s22
	s_sub_i32 s5, s5, s16
	s_add_i32 s15, s7, 1
	s_sub_i32 s16, s5, s22
	s_cmp_ge_u32 s5, s22
	s_cselect_b32 s7, s15, s7
	s_cselect_b32 s5, s16, s5
	s_add_i32 s15, s7, 1
	s_cmp_ge_u32 s5, s22
	s_cselect_b32 s18, s15, s7
.LBB12_6:
	s_cmp_eq_u32 s6, s18
	s_waitcnt lgkmcnt(0)
	s_mul_hi_u32 s5, s6, s12
	s_cselect_b64 s[16:17], -1, 0
	s_add_i32 s5, s5, s6
	s_lshr_b32 s7, s5, s13
	s_mul_i32 s5, s7, s14
	s_cmp_eq_u32 s5, s6
	s_mul_hi_u32 s5, s18, s12
	s_cselect_b64 s[20:21], -1, 0
	s_add_i32 s5, s5, s18
	s_lshr_b32 s5, s5, s13
	s_cmp_eq_u32 s7, s5
	s_mul_i32 s5, s5, s14
	s_cselect_b64 s[24:25], -1, 0
	s_cmp_lg_u32 s5, s18
	s_cselect_b64 s[18:19], -1, 0
	s_and_b64 s[18:19], s[24:25], s[18:19]
	s_or_b64 s[16:17], s[16:17], s[20:21]
	s_or_b64 s[16:17], s[16:17], s[18:19]
	s_and_b64 vcc, exec, s[16:17]
	s_cbranch_vccnz .LBB12_23
; %bb.7:
	s_load_dwordx8 s[24:31], s[0:1], 0x20
	s_load_dword s15, s[0:1], 0x40
	s_waitcnt lgkmcnt(0)
	s_mul_hi_u32 s5, s6, s24
	s_add_i32 s5, s5, s6
	s_lshr_b32 s5, s5, s25
	s_mul_i32 s16, s5, s26
	s_sub_i32 s16, s6, s16
	s_mul_hi_u32 s17, s16, s27
	s_add_i32 s17, s16, s17
	s_lshr_b32 s21, s17, s28
	s_mul_i32 s17, s21, s29
	s_sub_i32 s16, s16, s17
	;; [unrolled: 5-line block ×3, first 2 shown]
	s_mul_hi_u32 s16, s15, s12
	s_add_i32 s15, s15, s16
	s_lshr_b32 s23, s15, s13
	s_lshl_b32 s15, s23, 1
	s_add_i32 s15, s15, s3
	s_cmp_lt_i32 s15, s8
	s_cselect_b64 s[16:17], -1, 0
	s_add_i32 s15, s20, s4
	s_cmp_lt_i32 s15, s10
	s_cselect_b64 s[18:19], -1, 0
	s_and_b64 s[16:17], s[16:17], s[18:19]
	s_andn2_b64 vcc, exec, s[16:17]
	s_cbranch_vccnz .LBB12_23
; %bb.8:
	s_load_dwordx4 s[16:19], s[0:1], 0x0
	s_mov_b32 s0, 0
	s_lshl_b32 s24, s22, 3
	s_mov_b32 s25, s0
	s_add_i32 s15, s3, s4
	s_waitcnt lgkmcnt(0)
	v_mov_b32_e32 v2, s16
	v_mov_b32_e32 v3, s17
	s_lshl_b64 s[16:17], s[24:25], 2
	s_add_u32 s16, s18, s16
	s_mul_i32 s1, s5, s8
	s_addc_u32 s17, s19, s17
	s_add_i32 s1, s1, s3
	s_mul_i32 s1, s1, s9
	s_mul_i32 s21, s21, s10
	s_add_i32 s1, s1, s4
	s_add_i32 s1, s1, s21
	s_mul_i32 s5, s9, s23
	s_add_i32 s1, s1, s20
	s_lshl_b32 s5, s5, 7
	s_lshl_b32 s1, s1, 6
	s_add_i32 s5, s5, s1
	v_or_b32_e32 v4, s5, v0
	v_ashrrev_i32_e32 v5, 31, v4
	v_lshl_add_u64 v[2:3], v[4:5], 2, v[2:3]
	global_load_dword v1, v[2:3], off
	v_cvt_f32_u32_e32 v4, s22
	s_lshl_b32 s1, s2, 1
	s_add_i32 s4, s1, s15
	s_ashr_i32 s5, s4, 31
	s_lshl_b64 s[4:5], s[4:5], 3
	v_rcp_iflag_f32_e32 v4, v4
	s_add_u32 s4, s18, s4
	s_addc_u32 s5, s19, s5
	s_load_dwordx2 s[4:5], s[4:5], 0x0
	v_mul_f32_e32 v4, 0x4f7ffffe, v4
	v_cvt_u32_f32_e32 v7, v4
	s_add_i32 s24, s2, -1
	v_lshl_or_b32 v6, s15, 6, v0
	s_waitcnt lgkmcnt(0)
	v_mov_b32_e32 v0, s5
	v_mov_b32_e32 v9, s4
	s_mov_b32 s10, 0x3fb8aa3b
	s_mov_b32 s20, 0xc2ce8ed0
	;; [unrolled: 1-line block ×4, first 2 shown]
	v_mov_b32_e32 v8, 0x7f800000
	s_mul_hi_i32 s1, s24, s11
	s_cmp_lg_u64 s[0:1], 0
	s_mul_i32 s8, s24, s11
	s_cbranch_scc0 .LBB12_19
.LBB12_9:
	s_add_u32 s2, s22, 0
	s_addc_u32 s3, 0, 0
	s_xor_b64 s[2:3], s[2:3], 0
	v_cvt_f32_u32_e32 v4, s2
	v_cvt_f32_u32_e32 v5, s3
	s_sub_u32 s9, 0, s2
	s_subb_u32 s25, 0, s3
	v_fmac_f32_e32 v4, 0x4f800000, v5
	v_rcp_f32_e32 v4, v4
	s_nop 0
	v_mul_f32_e32 v4, 0x5f7ffffc, v4
	v_mul_f32_e32 v5, 0x2f800000, v4
	v_trunc_f32_e32 v5, v5
	v_fmac_f32_e32 v4, 0xcf800000, v5
	v_cvt_u32_f32_e32 v5, v5
	v_cvt_u32_f32_e32 v4, v4
	v_readfirstlane_b32 s26, v5
	v_readfirstlane_b32 s4, v4
	s_mul_i32 s5, s9, s26
	s_mul_hi_u32 s28, s9, s4
	s_mul_i32 s27, s25, s4
	s_add_i32 s5, s28, s5
	s_mul_i32 s29, s9, s4
	s_add_i32 s5, s5, s27
	s_mul_i32 s28, s4, s5
	s_mul_hi_u32 s30, s4, s29
	s_mul_hi_u32 s27, s4, s5
	s_add_u32 s28, s30, s28
	s_addc_u32 s27, 0, s27
	s_mul_hi_u32 s31, s26, s29
	s_mul_i32 s29, s26, s29
	s_add_u32 s28, s28, s29
	s_mul_hi_u32 s30, s26, s5
	s_addc_u32 s27, s27, s31
	s_addc_u32 s28, s30, 0
	s_mul_i32 s5, s26, s5
	s_add_u32 s5, s27, s5
	s_addc_u32 s27, 0, s28
	s_add_u32 s28, s4, s5
	s_cselect_b64 s[4:5], -1, 0
	s_cmp_lg_u64 s[4:5], 0
	s_addc_u32 s26, s26, s27
	s_mul_i32 s4, s9, s26
	s_mul_hi_u32 s5, s9, s28
	s_add_i32 s4, s5, s4
	s_mul_i32 s25, s25, s28
	s_add_i32 s4, s4, s25
	s_mul_i32 s9, s9, s28
	s_mul_hi_u32 s25, s26, s9
	s_mul_i32 s27, s26, s9
	s_mul_i32 s30, s28, s4
	s_mul_hi_u32 s9, s28, s9
	s_mul_hi_u32 s29, s28, s4
	s_add_u32 s9, s9, s30
	s_addc_u32 s29, 0, s29
	s_add_u32 s9, s9, s27
	s_mul_hi_u32 s5, s26, s4
	s_addc_u32 s9, s29, s25
	s_addc_u32 s5, s5, 0
	s_mul_i32 s4, s26, s4
	s_add_u32 s4, s9, s4
	s_addc_u32 s9, 0, s5
	s_add_u32 s25, s28, s4
	s_cselect_b64 s[4:5], -1, 0
	s_cmp_lg_u64 s[4:5], 0
	s_addc_u32 s9, s26, s9
	s_ashr_i32 s4, s1, 31
	s_add_u32 s26, s8, s4
	s_mov_b32 s5, s4
	s_addc_u32 s27, s1, s4
	s_xor_b64 s[26:27], s[26:27], s[4:5]
	s_mul_i32 s28, s26, s9
	s_mul_hi_u32 s29, s26, s25
	s_mul_hi_u32 s1, s26, s9
	s_add_u32 s28, s29, s28
	s_addc_u32 s1, 0, s1
	s_mul_hi_u32 s30, s27, s25
	s_mul_i32 s25, s27, s25
	s_add_u32 s25, s28, s25
	s_mul_hi_u32 s29, s27, s9
	s_addc_u32 s1, s1, s30
	s_addc_u32 s25, s29, 0
	s_mul_i32 s9, s27, s9
	s_add_u32 s1, s1, s9
	s_addc_u32 s9, 0, s25
	s_mul_i32 s25, s2, s9
	s_mul_hi_u32 s28, s2, s1
	s_add_i32 s25, s28, s25
	s_mul_i32 s28, s3, s1
	s_add_i32 s25, s25, s28
	s_sub_i32 s30, s27, s25
	s_mul_i32 s28, s2, s1
	s_sub_u32 s26, s26, s28
	s_cselect_b64 s[28:29], -1, 0
	s_cmp_lg_u64 s[28:29], 0
	s_subb_u32 s33, s30, s3
	s_sub_u32 s34, s26, s2
	s_cselect_b64 s[30:31], -1, 0
	s_cmp_lg_u64 s[30:31], 0
	s_subb_u32 s30, s33, 0
	s_cmp_ge_u32 s30, s3
	s_cselect_b32 s31, -1, 0
	s_cmp_ge_u32 s34, s2
	s_cselect_b32 s33, -1, 0
	s_cmp_eq_u32 s30, s3
	s_cselect_b32 s30, s33, s31
	s_add_u32 s31, s1, 1
	s_addc_u32 s33, s9, 0
	s_add_u32 s34, s1, 2
	s_addc_u32 s35, s9, 0
	s_cmp_lg_u32 s30, 0
	s_cselect_b32 s30, s34, s31
	s_cselect_b32 s31, s35, s33
	s_cmp_lg_u64 s[28:29], 0
	s_subb_u32 s25, s27, s25
	s_cmp_ge_u32 s25, s3
	s_cselect_b32 s27, -1, 0
	s_cmp_ge_u32 s26, s2
	s_cselect_b32 s2, -1, 0
	s_cmp_eq_u32 s25, s3
	s_cselect_b32 s2, s2, s27
	s_cmp_lg_u32 s2, 0
	s_cselect_b32 s3, s31, s9
	s_cselect_b32 s2, s30, s1
	s_xor_b64 s[4:5], s[4:5], 0
	s_xor_b64 s[2:3], s[2:3], s[4:5]
	s_sub_u32 s4, s2, s4
	s_cbranch_execnz .LBB12_11
.LBB12_10:
	s_sub_i32 s1, 0, s22
	v_readfirstlane_b32 s2, v7
	s_mul_i32 s1, s1, s2
	s_mul_hi_u32 s1, s2, s1
	s_add_i32 s2, s2, s1
	s_mul_hi_u32 s1, s8, s2
	s_mul_i32 s3, s1, s22
	s_sub_i32 s3, s8, s3
	s_add_i32 s2, s1, 1
	s_sub_i32 s4, s3, s22
	s_cmp_ge_u32 s3, s22
	s_cselect_b32 s1, s2, s1
	s_cselect_b32 s3, s4, s3
	s_add_i32 s2, s1, 1
	s_cmp_ge_u32 s3, s22
	s_cselect_b32 s4, s2, s1
.LBB12_11:
	s_cmp_lg_u32 s6, s4
	s_cbranch_scc0 .LBB12_15
; %bb.12:
	s_add_i32 s1, s24, s22
	s_lshl_b32 s1, s1, 1
	s_add_i32 s2, s1, s15
	s_mov_b32 s3, s0
	s_lshl_b64 s[2:3], s[2:3], 3
	s_add_u32 s8, s18, s2
	s_mul_hi_u32 s1, s4, s12
	s_addc_u32 s9, s19, s3
	s_add_i32 s1, s1, s4
	s_lshr_b32 s1, s1, s13
	s_mul_i32 s2, s1, s14
	s_cmp_eq_u32 s2, s4
	s_cselect_b64 s[2:3], -1, 0
	s_cmp_lt_u32 s1, s7
	s_cselect_b64 s[26:27], -1, 0
	s_or_b64 s[26:27], s[26:27], s[2:3]
	s_mov_b64 s[2:3], -1
	s_and_b64 vcc, exec, s[26:27]
	s_mov_b32 s1, s24
	s_mov_b32 s25, s6
	s_cbranch_vccnz .LBB12_14
; %bb.13:
	s_add_i32 s1, s24, -1
	s_mov_b64 s[2:3], 0
	s_mov_b32 s25, s4
.LBB12_14:
	v_lshl_add_u32 v4, s24, 7, v6
	v_ashrrev_i32_e32 v5, 31, v4
	v_lshl_add_u64 v[4:5], v[4:5], 2, s[16:17]
	global_load_dword v5, v[4:5], off
	s_load_dwordx2 s[4:5], s[8:9], 0x0
	v_max_f32_e32 v4, v9, v9
	s_waitcnt lgkmcnt(0)
	v_max_f32_e64 v10, s4, s4
	v_max_f32_e32 v10, v4, v10
	v_sub_f32_e32 v11, v9, v10
	v_sub_f32_e32 v13, s4, v10
	v_mul_f32_e32 v4, 0x3fb8aa3b, v11
	v_mul_f32_e32 v12, 0x3fb8aa3b, v13
	v_fma_f32 v14, v11, s10, -v4
	v_rndne_f32_e32 v15, v4
	v_fma_f32 v16, v13, s10, -v12
	v_rndne_f32_e32 v17, v12
	v_fmac_f32_e32 v14, 0x32a5705f, v11
	v_sub_f32_e32 v4, v4, v15
	v_fmac_f32_e32 v16, 0x32a5705f, v13
	v_sub_f32_e32 v12, v12, v17
	v_add_f32_e32 v4, v4, v14
	v_cvt_i32_f32_e32 v15, v15
	v_add_f32_e32 v12, v12, v16
	v_exp_f32_e32 v14, v4
	v_cvt_i32_f32_e32 v17, v17
	v_exp_f32_e32 v12, v12
	v_cmp_ngt_f32_e32 vcc, s20, v11
	v_ldexp_f32 v14, v14, v15
	v_mov_b32_e32 v4, s5
	v_ldexp_f32 v12, v12, v17
	v_cndmask_b32_e32 v14, 0, v14, vcc
	v_cmp_ngt_f32_e32 vcc, s20, v13
	s_nop 1
	v_cndmask_b32_e32 v12, 0, v12, vcc
	v_cmp_nlt_f32_e32 vcc, s21, v11
	s_nop 1
	v_cndmask_b32_e32 v14, v8, v14, vcc
	v_cmp_nlt_f32_e32 vcc, s21, v13
	s_nop 1
	v_cndmask_b32_e32 v15, v8, v12, vcc
	v_cmp_le_f32_e32 vcc, s23, v11
	s_nop 1
	v_cndmask_b32_e32 v12, 0, v14, vcc
	v_cmp_le_f32_e32 vcc, s23, v13
	s_nop 1
	v_cndmask_b32_e32 v14, 0, v15, vcc
	s_waitcnt vmcnt(0)
	v_pk_mul_f32 v[4:5], v[4:5], v[14:15] op_sel_hi:[1,0]
	s_nop 0
	v_pk_fma_f32 v[4:5], v[0:1], v[12:13], v[4:5] op_sel_hi:[1,0,1]
	s_cbranch_execz .LBB12_16
	s_branch .LBB12_17
.LBB12_15:
                                        ; implicit-def: $vgpr4_vgpr5
                                        ; implicit-def: $sgpr2_sgpr3
                                        ; implicit-def: $vgpr10
                                        ; implicit-def: $sgpr1
                                        ; implicit-def: $sgpr25
.LBB12_16:
	s_add_i32 s1, s24, -1
	s_mov_b64 s[2:3], 0
	s_mov_b32 s25, s6
	v_mov_b32_e32 v10, v9
	s_waitcnt vmcnt(0)
	v_mov_b64_e32 v[4:5], v[0:1]
.LBB12_17:
	s_andn2_b64 vcc, exec, s[2:3]
	s_cbranch_vccz .LBB12_22
; %bb.18:
	s_mov_b32 s6, s25
	s_mov_b32 s24, s1
	v_mov_b32_e32 v9, v10
	s_waitcnt vmcnt(0)
	v_mov_b64_e32 v[0:1], v[4:5]
	s_mul_hi_i32 s1, s24, s11
	s_cmp_lg_u64 s[0:1], 0
	s_mul_i32 s8, s24, s11
	s_cbranch_scc1 .LBB12_9
.LBB12_19:
                                        ; implicit-def: $sgpr4_sgpr5
	s_branch .LBB12_10
.LBB12_20:
                                        ; implicit-def: $sgpr6_sgpr7
	s_load_dwordx4 s[12:15], s[0:1], 0x44
	s_branch .LBB12_2
.LBB12_21:
                                        ; implicit-def: $sgpr18_sgpr19
	s_branch .LBB12_5
.LBB12_22:
	v_div_scale_f32 v0, s[0:1], v4, v4, v5
	s_waitcnt vmcnt(0)
	v_rcp_f32_e32 v1, v0
	v_div_scale_f32 v6, vcc, v5, v4, v5
	v_fma_f32 v7, -v0, v1, 1.0
	v_fmac_f32_e32 v1, v7, v1
	v_mul_f32_e32 v7, v6, v1
	v_fma_f32 v8, -v0, v7, v6
	v_fmac_f32_e32 v7, v8, v1
	v_fma_f32 v0, -v0, v7, v6
	v_div_fmas_f32 v0, v0, v1, v7
	v_div_fixup_f32 v0, v0, v4, v5
	global_store_dword v[2:3], v0, off
.LBB12_23:
	s_endpgm
	.section	.rodata,"a",@progbits
	.p2align	6, 0x0
	.amdhsa_kernel _ZL33flash_attn_stream_k_fixup_generalILi64ELi2ELi1EEvPfPK15HIP_vector_typeIfLj2EEiiiiS1_IjLj3EES5_S5_S5_
		.amdhsa_group_segment_fixed_size 0
		.amdhsa_private_segment_fixed_size 0
		.amdhsa_kernarg_size 336
		.amdhsa_user_sgpr_count 2
		.amdhsa_user_sgpr_dispatch_ptr 0
		.amdhsa_user_sgpr_queue_ptr 0
		.amdhsa_user_sgpr_kernarg_segment_ptr 1
		.amdhsa_user_sgpr_dispatch_id 0
		.amdhsa_user_sgpr_kernarg_preload_length 0
		.amdhsa_user_sgpr_kernarg_preload_offset 0
		.amdhsa_user_sgpr_private_segment_size 0
		.amdhsa_uses_dynamic_stack 0
		.amdhsa_enable_private_segment 0
		.amdhsa_system_sgpr_workgroup_id_x 1
		.amdhsa_system_sgpr_workgroup_id_y 1
		.amdhsa_system_sgpr_workgroup_id_z 1
		.amdhsa_system_sgpr_workgroup_info 0
		.amdhsa_system_vgpr_workitem_id 0
		.amdhsa_next_free_vgpr 18
		.amdhsa_next_free_sgpr 36
		.amdhsa_accum_offset 20
		.amdhsa_reserve_vcc 1
		.amdhsa_float_round_mode_32 0
		.amdhsa_float_round_mode_16_64 0
		.amdhsa_float_denorm_mode_32 3
		.amdhsa_float_denorm_mode_16_64 3
		.amdhsa_dx10_clamp 1
		.amdhsa_ieee_mode 1
		.amdhsa_fp16_overflow 0
		.amdhsa_tg_split 0
		.amdhsa_exception_fp_ieee_invalid_op 0
		.amdhsa_exception_fp_denorm_src 0
		.amdhsa_exception_fp_ieee_div_zero 0
		.amdhsa_exception_fp_ieee_overflow 0
		.amdhsa_exception_fp_ieee_underflow 0
		.amdhsa_exception_fp_ieee_inexact 0
		.amdhsa_exception_int_div_zero 0
	.end_amdhsa_kernel
	.section	.text._ZL33flash_attn_stream_k_fixup_generalILi64ELi2ELi1EEvPfPK15HIP_vector_typeIfLj2EEiiiiS1_IjLj3EES5_S5_S5_,"axG",@progbits,_ZL33flash_attn_stream_k_fixup_generalILi64ELi2ELi1EEvPfPK15HIP_vector_typeIfLj2EEiiiiS1_IjLj3EES5_S5_S5_,comdat
.Lfunc_end12:
	.size	_ZL33flash_attn_stream_k_fixup_generalILi64ELi2ELi1EEvPfPK15HIP_vector_typeIfLj2EEiiiiS1_IjLj3EES5_S5_S5_, .Lfunc_end12-_ZL33flash_attn_stream_k_fixup_generalILi64ELi2ELi1EEvPfPK15HIP_vector_typeIfLj2EEiiiiS1_IjLj3EES5_S5_S5_
                                        ; -- End function
	.set _ZL33flash_attn_stream_k_fixup_generalILi64ELi2ELi1EEvPfPK15HIP_vector_typeIfLj2EEiiiiS1_IjLj3EES5_S5_S5_.num_vgpr, 18
	.set _ZL33flash_attn_stream_k_fixup_generalILi64ELi2ELi1EEvPfPK15HIP_vector_typeIfLj2EEiiiiS1_IjLj3EES5_S5_S5_.num_agpr, 0
	.set _ZL33flash_attn_stream_k_fixup_generalILi64ELi2ELi1EEvPfPK15HIP_vector_typeIfLj2EEiiiiS1_IjLj3EES5_S5_S5_.numbered_sgpr, 36
	.set _ZL33flash_attn_stream_k_fixup_generalILi64ELi2ELi1EEvPfPK15HIP_vector_typeIfLj2EEiiiiS1_IjLj3EES5_S5_S5_.num_named_barrier, 0
	.set _ZL33flash_attn_stream_k_fixup_generalILi64ELi2ELi1EEvPfPK15HIP_vector_typeIfLj2EEiiiiS1_IjLj3EES5_S5_S5_.private_seg_size, 0
	.set _ZL33flash_attn_stream_k_fixup_generalILi64ELi2ELi1EEvPfPK15HIP_vector_typeIfLj2EEiiiiS1_IjLj3EES5_S5_S5_.uses_vcc, 1
	.set _ZL33flash_attn_stream_k_fixup_generalILi64ELi2ELi1EEvPfPK15HIP_vector_typeIfLj2EEiiiiS1_IjLj3EES5_S5_S5_.uses_flat_scratch, 0
	.set _ZL33flash_attn_stream_k_fixup_generalILi64ELi2ELi1EEvPfPK15HIP_vector_typeIfLj2EEiiiiS1_IjLj3EES5_S5_S5_.has_dyn_sized_stack, 0
	.set _ZL33flash_attn_stream_k_fixup_generalILi64ELi2ELi1EEvPfPK15HIP_vector_typeIfLj2EEiiiiS1_IjLj3EES5_S5_S5_.has_recursion, 0
	.set _ZL33flash_attn_stream_k_fixup_generalILi64ELi2ELi1EEvPfPK15HIP_vector_typeIfLj2EEiiiiS1_IjLj3EES5_S5_S5_.has_indirect_call, 0
	.section	.AMDGPU.csdata,"",@progbits
; Kernel info:
; codeLenInByte = 2932
; TotalNumSgprs: 42
; NumVgprs: 18
; NumAgprs: 0
; TotalNumVgprs: 18
; ScratchSize: 0
; MemoryBound: 0
; FloatMode: 240
; IeeeMode: 1
; LDSByteSize: 0 bytes/workgroup (compile time only)
; SGPRBlocks: 5
; VGPRBlocks: 2
; NumSGPRsForWavesPerEU: 42
; NumVGPRsForWavesPerEU: 18
; AccumOffset: 20
; Occupancy: 8
; WaveLimiterHint : 0
; COMPUTE_PGM_RSRC2:SCRATCH_EN: 0
; COMPUTE_PGM_RSRC2:USER_SGPR: 2
; COMPUTE_PGM_RSRC2:TRAP_HANDLER: 0
; COMPUTE_PGM_RSRC2:TGID_X_EN: 1
; COMPUTE_PGM_RSRC2:TGID_Y_EN: 1
; COMPUTE_PGM_RSRC2:TGID_Z_EN: 1
; COMPUTE_PGM_RSRC2:TIDIG_COMP_CNT: 0
; COMPUTE_PGM_RSRC3_GFX90A:ACCUM_OFFSET: 4
; COMPUTE_PGM_RSRC3_GFX90A:TG_SPLIT: 0
	.section	.text._ZL18flash_attn_ext_vecILi64ELi2EL9ggml_type3ELS0_30ELb1EEvPKcS2_S2_S2_S2_PKiPfP15HIP_vector_typeIfLj2EEffffjfiS6_IjLj3EEiiiiiiiiiiiliiliiiiil,"axG",@progbits,_ZL18flash_attn_ext_vecILi64ELi2EL9ggml_type3ELS0_30ELb1EEvPKcS2_S2_S2_S2_PKiPfP15HIP_vector_typeIfLj2EEffffjfiS6_IjLj3EEiiiiiiiiiiiliiliiiiil,comdat
	.globl	_ZL18flash_attn_ext_vecILi64ELi2EL9ggml_type3ELS0_30ELb1EEvPKcS2_S2_S2_S2_PKiPfP15HIP_vector_typeIfLj2EEffffjfiS6_IjLj3EEiiiiiiiiiiiliiliiiiil ; -- Begin function _ZL18flash_attn_ext_vecILi64ELi2EL9ggml_type3ELS0_30ELb1EEvPKcS2_S2_S2_S2_PKiPfP15HIP_vector_typeIfLj2EEffffjfiS6_IjLj3EEiiiiiiiiiiiliiliiiiil
	.p2align	8
	.type	_ZL18flash_attn_ext_vecILi64ELi2EL9ggml_type3ELS0_30ELb1EEvPKcS2_S2_S2_S2_PKiPfP15HIP_vector_typeIfLj2EEffffjfiS6_IjLj3EEiiiiiiiiiiiliiliiiiil,@function
_ZL18flash_attn_ext_vecILi64ELi2EL9ggml_type3ELS0_30ELb1EEvPKcS2_S2_S2_S2_PKiPfP15HIP_vector_typeIfLj2EEffffjfiS6_IjLj3EEiiiiiiiiiiiliiliiiiil: ; @_ZL18flash_attn_ext_vecILi64ELi2EL9ggml_type3ELS0_30ELb1EEvPKcS2_S2_S2_S2_PKiPfP15HIP_vector_typeIfLj2EEffffjfiS6_IjLj3EEiiiiiiiiiiiliiliiiiil
; %bb.0:
	s_add_u32 s8, s0, 0xd0
	s_addc_u32 s9, s1, 0
	s_getpc_b64 s[0:1]
	s_add_u32 s0, s0, _ZL14no_device_codePKciS0_iS0_@rel32@lo+4
	s_addc_u32 s1, s1, _ZL14no_device_codePKciS0_iS0_@rel32@hi+12
	s_mov_b32 s32, 0
	s_swappc_b64 s[30:31], s[0:1]
	.section	.rodata,"a",@progbits
	.p2align	6, 0x0
	.amdhsa_kernel _ZL18flash_attn_ext_vecILi64ELi2EL9ggml_type3ELS0_30ELb1EEvPKcS2_S2_S2_S2_PKiPfP15HIP_vector_typeIfLj2EEffffjfiS6_IjLj3EEiiiiiiiiiiiliiliiiiil
		.amdhsa_group_segment_fixed_size 0
		.amdhsa_private_segment_fixed_size 16
		.amdhsa_kernarg_size 464
		.amdhsa_user_sgpr_count 2
		.amdhsa_user_sgpr_dispatch_ptr 0
		.amdhsa_user_sgpr_queue_ptr 0
		.amdhsa_user_sgpr_kernarg_segment_ptr 1
		.amdhsa_user_sgpr_dispatch_id 0
		.amdhsa_user_sgpr_kernarg_preload_length 0
		.amdhsa_user_sgpr_kernarg_preload_offset 0
		.amdhsa_user_sgpr_private_segment_size 0
		.amdhsa_uses_dynamic_stack 0
		.amdhsa_enable_private_segment 1
		.amdhsa_system_sgpr_workgroup_id_x 1
		.amdhsa_system_sgpr_workgroup_id_y 0
		.amdhsa_system_sgpr_workgroup_id_z 0
		.amdhsa_system_sgpr_workgroup_info 0
		.amdhsa_system_vgpr_workitem_id 0
		.amdhsa_next_free_vgpr 52
		.amdhsa_next_free_sgpr 34
		.amdhsa_accum_offset 52
		.amdhsa_reserve_vcc 1
		.amdhsa_float_round_mode_32 0
		.amdhsa_float_round_mode_16_64 0
		.amdhsa_float_denorm_mode_32 3
		.amdhsa_float_denorm_mode_16_64 3
		.amdhsa_dx10_clamp 1
		.amdhsa_ieee_mode 1
		.amdhsa_fp16_overflow 0
		.amdhsa_tg_split 0
		.amdhsa_exception_fp_ieee_invalid_op 0
		.amdhsa_exception_fp_denorm_src 0
		.amdhsa_exception_fp_ieee_div_zero 0
		.amdhsa_exception_fp_ieee_overflow 0
		.amdhsa_exception_fp_ieee_underflow 0
		.amdhsa_exception_fp_ieee_inexact 0
		.amdhsa_exception_int_div_zero 0
	.end_amdhsa_kernel
	.section	.text._ZL18flash_attn_ext_vecILi64ELi2EL9ggml_type3ELS0_30ELb1EEvPKcS2_S2_S2_S2_PKiPfP15HIP_vector_typeIfLj2EEffffjfiS6_IjLj3EEiiiiiiiiiiiliiliiiiil,"axG",@progbits,_ZL18flash_attn_ext_vecILi64ELi2EL9ggml_type3ELS0_30ELb1EEvPKcS2_S2_S2_S2_PKiPfP15HIP_vector_typeIfLj2EEffffjfiS6_IjLj3EEiiiiiiiiiiiliiliiiiil,comdat
.Lfunc_end13:
	.size	_ZL18flash_attn_ext_vecILi64ELi2EL9ggml_type3ELS0_30ELb1EEvPKcS2_S2_S2_S2_PKiPfP15HIP_vector_typeIfLj2EEffffjfiS6_IjLj3EEiiiiiiiiiiiliiliiiiil, .Lfunc_end13-_ZL18flash_attn_ext_vecILi64ELi2EL9ggml_type3ELS0_30ELb1EEvPKcS2_S2_S2_S2_PKiPfP15HIP_vector_typeIfLj2EEffffjfiS6_IjLj3EEiiiiiiiiiiiliiliiiiil
                                        ; -- End function
	.set _ZL18flash_attn_ext_vecILi64ELi2EL9ggml_type3ELS0_30ELb1EEvPKcS2_S2_S2_S2_PKiPfP15HIP_vector_typeIfLj2EEffffjfiS6_IjLj3EEiiiiiiiiiiiliiliiiiil.num_vgpr, max(0, .L_ZL14no_device_codePKciS0_iS0_.num_vgpr)
	.set _ZL18flash_attn_ext_vecILi64ELi2EL9ggml_type3ELS0_30ELb1EEvPKcS2_S2_S2_S2_PKiPfP15HIP_vector_typeIfLj2EEffffjfiS6_IjLj3EEiiiiiiiiiiiliiliiiiil.num_agpr, max(0, .L_ZL14no_device_codePKciS0_iS0_.num_agpr)
	.set _ZL18flash_attn_ext_vecILi64ELi2EL9ggml_type3ELS0_30ELb1EEvPKcS2_S2_S2_S2_PKiPfP15HIP_vector_typeIfLj2EEffffjfiS6_IjLj3EEiiiiiiiiiiiliiliiiiil.numbered_sgpr, max(33, .L_ZL14no_device_codePKciS0_iS0_.numbered_sgpr)
	.set _ZL18flash_attn_ext_vecILi64ELi2EL9ggml_type3ELS0_30ELb1EEvPKcS2_S2_S2_S2_PKiPfP15HIP_vector_typeIfLj2EEffffjfiS6_IjLj3EEiiiiiiiiiiiliiliiiiil.num_named_barrier, max(0, .L_ZL14no_device_codePKciS0_iS0_.num_named_barrier)
	.set _ZL18flash_attn_ext_vecILi64ELi2EL9ggml_type3ELS0_30ELb1EEvPKcS2_S2_S2_S2_PKiPfP15HIP_vector_typeIfLj2EEffffjfiS6_IjLj3EEiiiiiiiiiiiliiliiiiil.private_seg_size, 0+max(.L_ZL14no_device_codePKciS0_iS0_.private_seg_size)
	.set _ZL18flash_attn_ext_vecILi64ELi2EL9ggml_type3ELS0_30ELb1EEvPKcS2_S2_S2_S2_PKiPfP15HIP_vector_typeIfLj2EEffffjfiS6_IjLj3EEiiiiiiiiiiiliiliiiiil.uses_vcc, or(1, .L_ZL14no_device_codePKciS0_iS0_.uses_vcc)
	.set _ZL18flash_attn_ext_vecILi64ELi2EL9ggml_type3ELS0_30ELb1EEvPKcS2_S2_S2_S2_PKiPfP15HIP_vector_typeIfLj2EEffffjfiS6_IjLj3EEiiiiiiiiiiiliiliiiiil.uses_flat_scratch, or(0, .L_ZL14no_device_codePKciS0_iS0_.uses_flat_scratch)
	.set _ZL18flash_attn_ext_vecILi64ELi2EL9ggml_type3ELS0_30ELb1EEvPKcS2_S2_S2_S2_PKiPfP15HIP_vector_typeIfLj2EEffffjfiS6_IjLj3EEiiiiiiiiiiiliiliiiiil.has_dyn_sized_stack, or(0, .L_ZL14no_device_codePKciS0_iS0_.has_dyn_sized_stack)
	.set _ZL18flash_attn_ext_vecILi64ELi2EL9ggml_type3ELS0_30ELb1EEvPKcS2_S2_S2_S2_PKiPfP15HIP_vector_typeIfLj2EEffffjfiS6_IjLj3EEiiiiiiiiiiiliiliiiiil.has_recursion, or(0, .L_ZL14no_device_codePKciS0_iS0_.has_recursion)
	.set _ZL18flash_attn_ext_vecILi64ELi2EL9ggml_type3ELS0_30ELb1EEvPKcS2_S2_S2_S2_PKiPfP15HIP_vector_typeIfLj2EEffffjfiS6_IjLj3EEiiiiiiiiiiiliiliiiiil.has_indirect_call, or(0, .L_ZL14no_device_codePKciS0_iS0_.has_indirect_call)
	.section	.AMDGPU.csdata,"",@progbits
; Kernel info:
; codeLenInByte = 40
; TotalNumSgprs: 40
; NumVgprs: 52
; NumAgprs: 0
; TotalNumVgprs: 52
; ScratchSize: 16
; MemoryBound: 0
; FloatMode: 240
; IeeeMode: 1
; LDSByteSize: 0 bytes/workgroup (compile time only)
; SGPRBlocks: 4
; VGPRBlocks: 6
; NumSGPRsForWavesPerEU: 40
; NumVGPRsForWavesPerEU: 52
; AccumOffset: 52
; Occupancy: 8
; WaveLimiterHint : 1
; COMPUTE_PGM_RSRC2:SCRATCH_EN: 1
; COMPUTE_PGM_RSRC2:USER_SGPR: 2
; COMPUTE_PGM_RSRC2:TRAP_HANDLER: 0
; COMPUTE_PGM_RSRC2:TGID_X_EN: 1
; COMPUTE_PGM_RSRC2:TGID_Y_EN: 0
; COMPUTE_PGM_RSRC2:TGID_Z_EN: 0
; COMPUTE_PGM_RSRC2:TIDIG_COMP_CNT: 0
; COMPUTE_PGM_RSRC3_GFX90A:ACCUM_OFFSET: 12
; COMPUTE_PGM_RSRC3_GFX90A:TG_SPLIT: 0
	.section	.text._ZL18flash_attn_ext_vecILi128ELi1EL9ggml_type3ELS0_30ELb0EEvPKcS2_S2_S2_S2_PKiPfP15HIP_vector_typeIfLj2EEffffjfiS6_IjLj3EEiiiiiiiiiiiliiliiiiil,"axG",@progbits,_ZL18flash_attn_ext_vecILi128ELi1EL9ggml_type3ELS0_30ELb0EEvPKcS2_S2_S2_S2_PKiPfP15HIP_vector_typeIfLj2EEffffjfiS6_IjLj3EEiiiiiiiiiiiliiliiiiil,comdat
	.globl	_ZL18flash_attn_ext_vecILi128ELi1EL9ggml_type3ELS0_30ELb0EEvPKcS2_S2_S2_S2_PKiPfP15HIP_vector_typeIfLj2EEffffjfiS6_IjLj3EEiiiiiiiiiiiliiliiiiil ; -- Begin function _ZL18flash_attn_ext_vecILi128ELi1EL9ggml_type3ELS0_30ELb0EEvPKcS2_S2_S2_S2_PKiPfP15HIP_vector_typeIfLj2EEffffjfiS6_IjLj3EEiiiiiiiiiiiliiliiiiil
	.p2align	8
	.type	_ZL18flash_attn_ext_vecILi128ELi1EL9ggml_type3ELS0_30ELb0EEvPKcS2_S2_S2_S2_PKiPfP15HIP_vector_typeIfLj2EEffffjfiS6_IjLj3EEiiiiiiiiiiiliiliiiiil,@function
_ZL18flash_attn_ext_vecILi128ELi1EL9ggml_type3ELS0_30ELb0EEvPKcS2_S2_S2_S2_PKiPfP15HIP_vector_typeIfLj2EEffffjfiS6_IjLj3EEiiiiiiiiiiiliiliiiiil: ; @_ZL18flash_attn_ext_vecILi128ELi1EL9ggml_type3ELS0_30ELb0EEvPKcS2_S2_S2_S2_PKiPfP15HIP_vector_typeIfLj2EEffffjfiS6_IjLj3EEiiiiiiiiiiiliiliiiiil
; %bb.0:
	s_load_dwordx2 s[34:35], s[0:1], 0x64
	s_load_dwordx2 s[42:43], s[0:1], 0x80
	;; [unrolled: 1-line block ×3, first 2 shown]
	v_mov_b32_e32 v59, 1.0
	s_waitcnt lgkmcnt(0)
	v_cvt_f32_u32_e32 v1, s35
	s_sub_i32 s5, 0, s35
	v_rcp_iflag_f32_e32 v1, v1
	s_nop 0
	v_mul_f32_e32 v1, 0x4f7ffffe, v1
	v_cvt_u32_f32_e32 v1, v1
	s_nop 0
	v_readfirstlane_b32 s6, v1
	s_mul_i32 s5, s5, s6
	s_mul_hi_u32 s5, s6, s5
	s_add_i32 s6, s6, s5
	s_mul_hi_u32 s5, s4, s6
	s_mul_i32 s6, s5, s35
	s_sub_i32 s6, s4, s6
	s_add_i32 s7, s5, 1
	s_sub_i32 s8, s6, s35
	s_cmp_ge_u32 s6, s35
	s_cselect_b32 s5, s7, s5
	s_cselect_b32 s6, s8, s6
	s_add_i32 s7, s5, 1
	s_cmp_ge_u32 s6, s35
	s_cselect_b32 s33, s7, s5
	s_abs_i32 s6, s43
	v_cvt_f32_u32_e32 v1, s6
	s_mul_i32 s15, s33, s35
	s_sub_i32 s16, 0, s6
	s_sub_i32 s40, s4, s15
	v_rcp_iflag_f32_e32 v1, v1
	s_abs_i32 s14, s35
	s_xor_b32 s7, s35, s43
	s_ashr_i32 s7, s7, 31
	v_mul_f32_e32 v1, 0x4f7ffffe, v1
	v_cvt_u32_f32_e32 v1, v1
	s_load_dwordx4 s[8:11], s[0:1], 0x40
	s_load_dword s5, s[0:1], 0x50
	v_readfirstlane_b32 s4, v1
	s_mul_i32 s16, s16, s4
	s_mul_hi_u32 s15, s4, s16
	s_add_i32 s4, s4, s15
	s_mul_hi_u32 s4, s14, s4
	s_mul_i32 s15, s4, s6
	s_sub_i32 s14, s14, s15
	s_add_i32 s16, s4, 1
	s_sub_i32 s15, s14, s6
	s_cmp_ge_u32 s14, s6
	s_cselect_b32 s4, s16, s4
	s_cselect_b32 s14, s15, s14
	s_add_i32 s15, s4, 1
	s_cmp_ge_u32 s14, s6
	s_cselect_b32 s4, s15, s4
	s_xor_b32 s4, s4, s7
	s_sub_i32 s36, s4, s7
	s_abs_i32 s44, s36
	s_abs_i32 s12, s12
	v_cvt_f32_u32_e32 v2, s44
	v_cvt_f32_u32_e32 v1, s12
	s_sub_i32 s6, 0, s44
	s_sub_i32 s4, 0, s12
	v_rcp_iflag_f32_e32 v2, v2
	v_rcp_iflag_f32_e32 v1, v1
	s_abs_i32 s45, s40
	s_abs_i32 s43, s33
	v_mul_f32_e32 v2, 0x4f7ffffe, v2
	v_mul_f32_e32 v1, 0x4f7ffffe, v1
	v_cvt_u32_f32_e32 v2, v2
	v_cvt_u32_f32_e32 v1, v1
	v_readfirstlane_b32 s14, v2
	v_readfirstlane_b32 s15, v1
	s_mul_i32 s6, s6, s14
	s_mul_i32 s4, s4, s15
	s_mul_hi_u32 s6, s14, s6
	s_add_i32 s14, s14, s6
	s_mul_hi_u32 s4, s15, s4
	s_waitcnt lgkmcnt(0)
	v_cmp_le_f32_e64 s[6:7], s9, 0
	s_add_i32 s15, s15, s4
	s_and_b64 vcc, exec, s[6:7]
	s_cbranch_vccnz .LBB14_2
; %bb.1:
	v_mov_b32_e32 v1, s5
	v_sub_co_u32_e32 v1, vcc, s40, v1
	v_mov_b32_e32 v2, s11
	v_mov_b32_e32 v3, s10
	s_add_i32 s4, s40, 1
	v_lshlrev_b32_e32 v1, 1, v1
	v_cndmask_b32_e32 v2, v2, v3, vcc
	v_or_b32_e32 v1, 1, v1
	v_mov_b32_e32 v3, s4
	v_cndmask_b32_e32 v1, v1, v3, vcc
	v_cvt_f32_i32_e32 v1, v1
	v_cmp_neq_f32_e32 vcc, 1.0, v2
	s_mov_b32 s4, 0x3f2aaaab
	s_movk_i32 s6, 0x204
	v_cndmask_b32_e32 v1, 1.0, v1, vcc
	v_cmp_neq_f32_e32 vcc, 0, v1
	s_mov_b32 s5, 0x42b17218
	s_mov_b32 s7, 0x3fb8aa3b
	v_cndmask_b32_e32 v18, 1.0, v2, vcc
	v_frexp_mant_f32_e64 v2, |v18|
	v_cmp_gt_f32_e32 vcc, s4, v2
	s_mov_b32 s4, 0x3f317218
	s_brev_b32 s16, -2
	v_cndmask_b32_e64 v3, 1.0, 2.0, vcc
	v_mul_f32_e32 v2, v2, v3
	v_add_f32_e32 v5, 1.0, v2
	v_rcp_f32_e32 v10, v5
	v_add_f32_e32 v3, -1.0, v5
	v_sub_f32_e32 v7, v2, v3
	v_add_f32_e32 v3, -1.0, v2
	v_mul_f32_e32 v11, v3, v10
	v_mul_f32_e32 v4, v5, v11
	v_fma_f32 v6, v11, v5, -v4
	v_fmac_f32_e32 v6, v11, v7
	v_add_f32_e32 v2, v4, v6
	v_sub_f32_e32 v5, v3, v2
	v_pk_add_f32 v[8:9], v[2:3], v[4:5] neg_lo:[0,1] neg_hi:[0,1]
	v_mov_b32_e32 v7, v2
	v_pk_add_f32 v[2:3], v[8:9], v[6:7] neg_lo:[0,1] neg_hi:[0,1]
	v_mov_b32_e32 v6, 0x3e91f4c4
	v_add_f32_e32 v2, v2, v3
	v_add_f32_e32 v2, v5, v2
	v_mul_f32_e32 v3, v10, v2
	v_add_f32_e32 v2, v11, v3
	v_sub_f32_e32 v4, v2, v11
	v_sub_f32_e32 v12, v3, v4
	v_mul_f32_e32 v3, v2, v2
	v_fma_f32 v5, v2, v2, -v3
	v_add_f32_e32 v4, v12, v12
	v_fmac_f32_e32 v5, v2, v4
	v_add_f32_e32 v4, v3, v5
	v_fmac_f32_e32 v6, 0x3e76c4e1, v4
	v_fmaak_f32 v6, v4, v6, 0x3ecccdef
	v_sub_f32_e32 v3, v4, v3
	v_sub_f32_e32 v13, v5, v3
	v_mul_f32_e32 v3, v4, v6
	v_fma_f32 v5, v4, v6, -v3
	v_fmac_f32_e32 v5, v13, v6
	v_add_f32_e32 v6, v3, v5
	v_add_f32_e32 v7, 0x3f2aaaaa, v6
	v_sub_f32_e32 v3, v6, v3
	v_sub_f32_e32 v3, v5, v3
	v_add_f32_e32 v5, 0xbf2aaaaa, v7
	v_add_f32_e32 v3, 0x31739010, v3
	v_sub_f32_e32 v5, v6, v5
	v_pk_mul_f32 v[8:9], v[2:3], v[4:5]
	v_pk_add_f32 v[10:11], v[2:3], v[4:5]
	v_fma_f32 v6, v4, v2, -v8
	v_fmac_f32_e32 v6, v4, v12
	v_mov_b32_e32 v9, v11
	v_fmac_f32_e32 v6, v13, v2
	v_pk_add_f32 v[4:5], v[8:9], v[6:7]
	v_ldexp_f32 v14, v12, 1
	v_sub_f32_e32 v3, v4, v8
	v_sub_f32_e32 v3, v6, v3
	;; [unrolled: 1-line block ×3, first 2 shown]
	v_add_f32_e32 v9, v11, v6
	v_pk_mul_f32 v[6:7], v[4:5], v[4:5] op_sel:[0,1] op_sel_hi:[1,0]
	v_cvt_f64_f32_e64 v[10:11], |v18|
	v_frexp_exp_i32_f64_e32 v7, v[10:11]
	v_subbrev_co_u32_e32 v7, vcc, 0, v7, vcc
	v_cvt_f32_i32_e32 v7, v7
	v_fma_f32 v8, v4, v5, -v6
	v_fmac_f32_e32 v8, v4, v9
	v_fmac_f32_e32 v8, v3, v5
	v_mul_f32_e32 v4, 0x3f317218, v7
	v_fma_f32 v3, v7, s4, -v4
	v_fmamk_f32 v10, v7, 0xb102e308, v3
	v_ldexp_f32 v11, v2, 1
	v_add_f32_e32 v5, v6, v8
	v_pk_add_f32 v[2:3], v[4:5], v[10:11]
	v_mov_b32_e32 v12, v5
	v_mov_b32_e32 v13, v3
	v_mov_b32_e32 v7, v11
	v_pk_add_f32 v[6:7], v[12:13], v[6:7] neg_lo:[0,1] neg_hi:[0,1]
	v_mov_b32_e32 v9, v5
	v_pk_add_f32 v[6:7], v[8:9], v[6:7] neg_lo:[0,1] neg_hi:[0,1]
	v_mov_b32_e32 v11, v2
	v_add_f32_e32 v5, v14, v6
	v_add_f32_e32 v5, v5, v7
	v_pk_add_f32 v[6:7], v[2:3], v[4:5] neg_lo:[0,1] neg_hi:[0,1]
	v_pk_add_f32 v[8:9], v[2:3], v[4:5]
	v_mov_b32_e32 v16, v3
	v_mov_b32_e32 v7, v9
	v_pk_add_f32 v[12:13], v[10:11], v[6:7] neg_lo:[0,1] neg_hi:[0,1]
	v_pk_add_f32 v[6:7], v[10:11], v[6:7]
	v_mov_b32_e32 v4, v5
	v_pk_add_f32 v[10:11], v[6:7], v[2:3] op_sel:[1,0] op_sel_hi:[0,1] neg_lo:[0,1] neg_hi:[0,1]
	v_pk_add_f32 v[14:15], v[8:9], v[10:11] op_sel_hi:[1,0] neg_lo:[0,1] neg_hi:[0,1]
	v_mov_b32_e32 v8, v9
	v_mov_b32_e32 v9, v7
	v_mov_b32_e32 v17, v10
	v_pk_add_f32 v[8:9], v[8:9], v[16:17] neg_lo:[0,1] neg_hi:[0,1]
	v_mov_b32_e32 v5, v2
	v_pk_add_f32 v[2:3], v[4:5], v[8:9] neg_lo:[0,1] neg_hi:[0,1]
	v_mov_b32_e32 v14, v12
	v_pk_add_f32 v[4:5], v[14:15], v[2:3]
	v_mov_b32_e32 v13, v7
	v_pk_add_f32 v[8:9], v[4:5], v[4:5] op_sel:[0,1] op_sel_hi:[1,0]
	s_mov_b32 s4, 0x7f800000
	v_pk_add_f32 v[6:7], v[6:7], v[8:9] op_sel:[1,0] op_sel_hi:[0,1]
	v_mov_b32_e32 v5, v6
	v_pk_add_f32 v[10:11], v[4:5], v[12:13] neg_lo:[0,1] neg_hi:[0,1]
	v_mov_b32_e32 v3, v8
	v_sub_f32_e32 v4, v4, v10
	v_pk_add_f32 v[2:3], v[2:3], v[10:11] neg_lo:[0,1] neg_hi:[0,1]
	v_sub_f32_e32 v4, v12, v4
	v_add_f32_e32 v2, v2, v4
	v_add_f32_e32 v2, v2, v3
	;; [unrolled: 1-line block ×3, first 2 shown]
	v_sub_f32_e32 v4, v3, v6
	v_sub_f32_e32 v2, v2, v4
	v_mul_f32_e32 v4, v1, v3
	v_fma_f32 v3, v1, v3, -v4
	v_fmac_f32_e32 v3, v1, v2
	v_add_f32_e32 v2, v4, v3
	v_cmp_class_f32_e64 vcc, v4, s6
	v_sub_f32_e32 v5, v2, v4
	v_sub_f32_e32 v3, v3, v5
	v_cndmask_b32_e32 v2, v2, v4, vcc
	v_mov_b32_e32 v4, 0x37000000
	v_cmp_eq_f32_e32 vcc, s5, v2
	v_cmp_class_f32_e64 s[10:11], v18, s6
	s_nop 0
	v_cndmask_b32_e32 v4, 0, v4, vcc
	v_sub_f32_e32 v5, v2, v4
	v_mul_f32_e32 v6, 0x3fb8aa3b, v5
	v_fma_f32 v7, v5, s7, -v6
	v_rndne_f32_e32 v8, v6
	v_fmamk_f32 v7, v5, 0x32a5705f, v7
	v_sub_f32_e32 v6, v6, v8
	v_add_f32_e32 v6, v6, v7
	v_exp_f32_e32 v6, v6
	v_cvt_i32_f32_e32 v7, v8
	v_cmp_neq_f32_e64 vcc, |v2|, s4
	s_mov_b32 s4, 0xc2ce8ed0
	s_nop 0
	v_cndmask_b32_e32 v2, 0, v3, vcc
	v_ldexp_f32 v3, v6, v7
	v_cmp_ngt_f32_e32 vcc, s4, v5
	v_add_f32_e32 v2, v4, v2
	v_mov_b32_e32 v4, 0x7f800000
	v_cndmask_b32_e32 v3, 0, v3, vcc
	v_cmp_nlt_f32_e32 vcc, s5, v5
	v_mov_b32_e32 v5, 0x7fc00000
	s_nop 0
	v_cndmask_b32_e32 v3, v4, v3, vcc
	v_fma_f32 v2, v3, v2, v3
	v_cmp_class_f32_e64 vcc, v3, s6
	v_cmp_gt_f32_e64 s[6:7], 0, v1
	s_nop 0
	v_cndmask_b32_e32 v2, v2, v3, vcc
	v_trunc_f32_e32 v3, v1
	v_cmp_eq_f32_e32 vcc, v3, v1
	v_mul_f32_e32 v3, 0.5, v1
	v_trunc_f32_e32 v6, v3
	v_cmp_neq_f32_e64 s[4:5], v6, v3
	s_and_b64 s[4:5], vcc, s[4:5]
	s_nop 0
	v_cndmask_b32_e64 v3, 1.0, v18, s[4:5]
	v_bfi_b32 v2, s16, v2, v3
	v_cndmask_b32_e32 v3, v5, v2, vcc
	v_cmp_gt_f32_e32 vcc, 0, v18
	s_nop 1
	v_cndmask_b32_e32 v2, v2, v3, vcc
	v_cmp_eq_f32_e32 vcc, 0, v18
	s_xor_b64 s[6:7], s[6:7], vcc
	v_cndmask_b32_e64 v1, v4, 0, s[6:7]
	v_cndmask_b32_e64 v3, 0, v18, s[4:5]
	v_bfi_b32 v1, s16, v1, v3
	s_or_b64 vcc, vcc, s[10:11]
	v_cndmask_b32_e32 v1, v2, v1, vcc
	v_cmp_o_f32_e32 vcc, v18, v18
	s_nop 1
	v_cndmask_b32_e32 v59, v5, v1, vcc
.LBB14_2:
	s_load_dwordx16 s[16:31], s[0:1], 0x0
	v_bfe_u32 v52, v0, 10, 10
	v_and_b32_e32 v54, 0x3ff, v0
	s_mul_hi_u32 s11, s45, s14
	s_mul_hi_u32 s10, s43, s15
	v_cmp_eq_u32_e64 s[14:15], 0, v52
	v_lshlrev_b32_e32 v53, 4, v54
	v_mbcnt_lo_u32_b32 v55, -1, 0
	s_and_saveexec_b64 s[4:5], s[14:15]
	s_cbranch_execz .LBB14_7
; %bb.3:
	s_load_dwordx4 s[48:51], s[0:1], 0x70
	v_mbcnt_hi_u32_b32 v2, -1, v55
	v_and_b32_e32 v0, 0x60, v2
	v_xor_b32_e32 v1, 4, v2
	v_add_u32_e32 v7, 32, v0
	s_waitcnt lgkmcnt(0)
	s_mul_i32 s6, s33, s50
	s_mul_i32 s37, s48, s2
	;; [unrolled: 1-line block ×3, first 2 shown]
	s_add_i32 s6, s6, s37
	s_add_i32 s6, s6, s7
	s_ashr_i32 s7, s6, 31
	s_add_u32 s6, s16, s6
	s_addc_u32 s7, s17, s7
	global_load_dwordx4 v[8:11], v53, s[6:7]
	v_xor_b32_e32 v3, 2, v2
	v_cmp_lt_i32_e32 vcc, v1, v7
	v_xor_b32_e32 v4, 1, v2
	s_waitcnt vmcnt(0)
	v_mul_f32_e32 v6, s8, v8
	v_cndmask_b32_e32 v0, v2, v1, vcc
	v_cmp_lt_i32_e32 vcc, v3, v7
	v_mul_f32_e32 v5, s8, v10
	s_nop 0
	v_cndmask_b32_e32 v1, v2, v3, vcc
	v_lshlrev_b32_e32 v3, 2, v0
	v_lshlrev_b32_e32 v12, 2, v1
	v_mov_b32_e32 v0, v11
	v_mov_b32_e32 v1, v9
	v_pk_mul_f32 v[0:1], s[8:9], v[0:1] op_sel_hi:[0,1]
	v_max_f32_e64 v9, |v6|, |v1|
	v_max3_f32 v9, v9, |v5|, |v0|
	ds_bpermute_b32 v11, v3, v9
	v_fma_f32 v8, s8, v8, v1
	v_fmac_f32_e32 v8, s8, v10
	v_add_f32_e32 v8, v8, v0
	ds_bpermute_b32 v3, v3, v8
	s_waitcnt lgkmcnt(1)
	v_max_f32_e32 v10, v11, v11
	v_max_f32_e32 v9, v9, v10
	ds_bpermute_b32 v10, v12, v9
	v_cmp_lt_i32_e32 vcc, v4, v7
	s_waitcnt lgkmcnt(1)
	v_add_f32_e32 v3, v8, v3
	s_mov_b32 s8, 0x42fe0000
	v_cndmask_b32_e32 v2, v2, v4, vcc
	s_waitcnt lgkmcnt(0)
	v_max_f32_e32 v7, v10, v10
	v_lshlrev_b32_e32 v2, 2, v2
	v_max_f32_e32 v8, v9, v7
	ds_bpermute_b32 v4, v12, v3
	ds_bpermute_b32 v9, v2, v8
	v_mov_b32_e32 v7, 0
	s_waitcnt lgkmcnt(1)
	v_add_f32_e32 v3, v3, v4
	s_waitcnt lgkmcnt(0)
	v_max_f32_e32 v4, v9, v9
	v_max_f32_e32 v8, v8, v4
	v_div_scale_f32 v9, s[6:7], s8, s8, v8
	v_rcp_f32_e32 v10, v9
	ds_bpermute_b32 v4, v2, v3
	v_div_scale_f32 v2, vcc, v8, s8, v8
	v_fma_f32 v11, -v9, v10, 1.0
	v_fmac_f32_e32 v10, v11, v10
	v_mul_f32_e32 v11, v2, v10
	v_fma_f32 v12, -v9, v11, v2
	v_fmac_f32_e32 v11, v12, v10
	v_fma_f32 v2, -v9, v11, v2
	v_div_fmas_f32 v2, v2, v10, v11
	v_div_fixup_f32 v2, v2, s8, v8
	v_cmp_neq_f32_e32 vcc, 0, v2
	s_and_saveexec_b64 s[6:7], vcc
	s_cbranch_execz .LBB14_5
; %bb.4:
	v_div_scale_f32 v7, s[8:9], v2, v2, v6
	v_rcp_f32_e32 v8, v7
	v_div_scale_f32 v9, vcc, v6, v2, v6
	s_brev_b32 s16, -2
	v_fma_f32 v10, -v7, v8, 1.0
	v_fmac_f32_e32 v8, v10, v8
	v_mul_f32_e32 v10, v9, v8
	v_fma_f32 v11, -v7, v10, v9
	v_fmac_f32_e32 v10, v11, v8
	v_fma_f32 v7, -v7, v10, v9
	v_div_fmas_f32 v7, v7, v8, v10
	v_div_fixup_f32 v6, v7, v2, v6
	v_trunc_f32_e32 v7, v6
	v_sub_f32_e32 v8, v6, v7
	v_cmp_ge_f32_e64 s[8:9], |v8|, 0.5
	s_nop 1
	v_cndmask_b32_e64 v8, 0, 1.0, s[8:9]
	v_div_scale_f32 v9, s[8:9], v2, v2, v0
	v_rcp_f32_e32 v10, v9
	v_bfi_b32 v6, s16, v8, v6
	v_add_f32_e32 v6, v7, v6
	v_cvt_i32_f32_e32 v6, v6
	v_fma_f32 v7, -v9, v10, 1.0
	v_fmac_f32_e32 v10, v7, v10
	v_div_scale_f32 v7, vcc, v0, v2, v0
	v_mul_f32_e32 v8, v7, v10
	v_fma_f32 v11, -v9, v8, v7
	v_fmac_f32_e32 v8, v11, v10
	v_div_scale_f32 v11, s[8:9], v2, v2, v1
	v_rcp_f32_e32 v12, v11
	v_fma_f32 v7, -v9, v8, v7
	v_div_fmas_f32 v7, v7, v10, v8
	v_div_fixup_f32 v0, v7, v2, v0
	v_fma_f32 v8, -v11, v12, 1.0
	v_fmac_f32_e32 v12, v8, v12
	v_div_scale_f32 v8, vcc, v1, v2, v1
	v_mul_f32_e32 v9, v8, v12
	v_fma_f32 v10, -v11, v9, v8
	v_fmac_f32_e32 v9, v10, v12
	v_div_scale_f32 v10, s[8:9], v2, v2, v5
	v_rcp_f32_e32 v13, v10
	v_fma_f32 v8, -v11, v9, v8
	v_div_fmas_f32 v8, v8, v12, v9
	v_div_fixup_f32 v1, v8, v2, v1
	v_fma_f32 v9, -v10, v13, 1.0
	v_fmac_f32_e32 v13, v9, v13
	v_div_scale_f32 v9, vcc, v5, v2, v5
	v_mul_f32_e32 v11, v9, v13
	v_fma_f32 v12, -v10, v11, v9
	v_fmac_f32_e32 v11, v12, v13
	v_fma_f32 v9, -v10, v11, v9
	v_div_fmas_f32 v9, v9, v13, v11
	v_div_fixup_f32 v5, v9, v2, v5
	v_trunc_f32_e32 v9, v5
	v_sub_f32_e32 v10, v5, v9
	v_trunc_f32_e32 v7, v1
	v_cmp_ge_f32_e64 s[8:9], |v10|, 0.5
	v_sub_f32_e32 v8, v1, v7
	s_nop 0
	v_cndmask_b32_e64 v10, 0, 1.0, s[8:9]
	v_cmp_ge_f32_e64 s[8:9], |v8|, 0.5
	v_bfi_b32 v5, s16, v10, v5
	v_add_f32_e32 v5, v9, v5
	v_cndmask_b32_e64 v8, 0, 1.0, s[8:9]
	v_bfi_b32 v1, s16, v8, v1
	v_add_f32_e32 v1, v7, v1
	v_trunc_f32_e32 v7, v0
	v_sub_f32_e32 v8, v0, v7
	v_cmp_ge_f32_e64 s[8:9], |v8|, 0.5
	v_cvt_i32_f32_e32 v5, v5
	v_cvt_i32_f32_e32 v1, v1
	v_cndmask_b32_e64 v8, 0, 1.0, s[8:9]
	v_bfi_b32 v0, s16, v8, v0
	v_add_f32_e32 v0, v7, v0
	v_cvt_i32_f32_e32 v0, v0
	v_and_b32_e32 v5, 0xff, v5
	v_lshlrev_b32_e32 v5, 16, v5
	v_mov_b32_e32 v7, 8
	v_lshlrev_b32_sdwa v1, v7, v1 dst_sel:DWORD dst_unused:UNUSED_PAD src0_sel:DWORD src1_sel:BYTE_0
	v_lshl_or_b32 v0, v0, 24, v5
	v_and_b32_e32 v5, 0xff, v6
	v_or3_b32 v7, v0, v1, v5
.LBB14_5:
	s_or_b64 exec, exec, s[6:7]
	v_and_b32_e32 v1, 7, v54
	v_lshlrev_b32_e32 v0, 2, v54
	v_cmp_eq_u32_e32 vcc, 0, v1
	ds_write_b32 v0, v7
	s_and_b64 exec, exec, vcc
	s_cbranch_execz .LBB14_7
; %bb.6:
	s_waitcnt lgkmcnt(1)
	v_add_f32_e32 v3, v3, v4
	ds_write_b64 v54, v[2:3] offset:128
.LBB14_7:
	s_or_b64 exec, exec, s[4:5]
	v_and_b32_e32 v16, 3, v54
	v_lshlrev_b32_e32 v14, 2, v16
	v_mov_b32_e32 v50, 0
	s_waitcnt lgkmcnt(0)
	s_barrier
	ds_read2_b32 v[8:9], v14 offset1:4
	ds_read2_b32 v[10:11], v14 offset0:8 offset1:12
	ds_read_b128 v[0:3], v50 offset:128
	ds_read_b128 v[4:7], v50 offset:144
	ds_read2_b32 v[12:13], v14 offset0:16 offset1:20
	ds_read2_b32 v[14:15], v14 offset0:24 offset1:28
	s_ashr_i32 s41, s40, 31
	s_ashr_i32 s4, s36, 31
	s_ashr_i32 s62, s33, 31
	s_cmp_eq_u64 s[26:27], 0
	s_waitcnt lgkmcnt(0)
	s_barrier
	s_cbranch_scc1 .LBB14_9
; %bb.8:
	s_load_dword s5, s[0:1], 0xd0
	s_mov_b32 s7, 0
	s_waitcnt lgkmcnt(0)
	s_mul_i32 s5, s5, s33
	s_add_i32 s6, s5, s2
	s_lshl_b64 s[6:7], s[6:7], 2
	s_add_u32 s6, s26, s6
	s_addc_u32 s7, s27, s7
	s_load_dword s42, s[6:7], 0x0
.LBB14_9:
	v_lshlrev_b32_e32 v17, 5, v52
	v_add_u32_e32 v56, v17, v54
	s_lshl_b32 s16, s3, 7
	s_mov_b32 s27, 0
	s_waitcnt lgkmcnt(0)
	s_cmp_ge_i32 s16, s42
	v_lshlrev_b32_e32 v58, 2, v54
	v_lshlrev_b32_e32 v57, 1, v56
	s_cbranch_scc1 .LBB14_21
; %bb.10:
	s_load_dwordx4 s[36:39], s[0:1], 0x98
	s_load_dwordx2 s[60:61], s[0:1], 0x8c
	s_load_dwordx2 s[6:7], s[0:1], 0xc8
	s_xor_b32 s4, s41, s4
	s_mul_i32 s10, s10, s12
	s_waitcnt lgkmcnt(0)
	s_mul_i32 s8, s37, s33
	s_mul_i32 s9, s36, s62
	s_mul_hi_u32 s5, s36, s33
	s_add_i32 s64, s9, s8
	s_add_i32 s37, s64, s5
	s_mul_i32 s5, s11, s44
	s_sub_i32 s5, s45, s5
	s_add_i32 s8, s11, 1
	s_sub_i32 s9, s5, s44
	s_cmp_ge_u32 s5, s44
	s_cselect_b32 s8, s8, s11
	s_cselect_b32 s5, s9, s5
	s_add_i32 s9, s8, 1
	s_cmp_ge_u32 s5, s44
	s_cselect_b32 s5, s9, s8
	s_xor_b32 s5, s5, s4
	s_sub_i32 s4, s5, s4
	s_mul_i32 s56, s4, s61
	s_mul_i32 s54, s4, s39
	s_sub_i32 s4, s43, s10
	s_ashr_i32 s57, s56, 31
	s_ashr_i32 s55, s54, 31
	s_sub_i32 s5, s4, s12
	s_cmp_ge_u32 s4, s12
	s_cselect_b32 s4, s5, s4
	s_sub_i32 s5, s4, s12
	s_cmp_ge_u32 s4, s12
	s_cselect_b32 s4, s5, s4
	v_mbcnt_hi_u32_b32 v19, -1, v55
	s_xor_b32 s4, s4, s62
	v_and_b32_e32 v20, 0x7c, v19
	s_sub_i32 s4, s4, s62
	v_add_u32_e32 v20, 4, v20
	v_xor_b32_e32 v21, 2, v19
	s_ashr_i32 s5, s4, 31
	s_load_dwordx2 s[58:59], s[0:1], 0xa8
	s_load_dword s8, s[0:1], 0xd4
	v_cmp_lt_i32_e32 vcc, v21, v20
	s_mul_i32 s5, s6, s5
	s_mul_hi_u32 s9, s6, s4
	v_cndmask_b32_e32 v21, v19, v21, vcc
	s_add_i32 s5, s9, s5
	s_mul_i32 s7, s7, s4
	s_mul_i32 s65, s13, s2
	v_and_b32_e32 v18, 0x7c, v54
	v_lshlrev_b32_e32 v60, 2, v21
	v_xor_b32_e32 v21, 1, v19
	s_add_i32 s39, s5, s7
	s_ashr_i32 s66, s65, 31
	v_add_u32_e32 v18, v17, v18
	v_cmp_lt_i32_e32 vcc, v21, v20
	v_and_b32_e32 v50, 12, v58
	v_mov_b32_e32 v51, 0
	v_cndmask_b32_e32 v20, v19, v21, vcc
	s_cmp_lg_u64 s[22:23], 0
	v_mul_lo_u32 v34, v18, s60
	v_mov_b32_e32 v24, s33
	v_lshlrev_b32_e32 v61, 2, v20
	s_cselect_b64 s[46:47], -1, 0
	v_and_b32_e32 v20, 0x60, v19
	s_waitcnt lgkmcnt(0)
	s_lshl_b32 s48, s8, 7
	v_add_u32_e32 v30, s60, v34
	v_mad_u64_u32 v[32:33], s[12:13], s36, v24, v[50:51]
	s_mul_i32 s43, s6, s4
	s_mov_b32 s17, s27
	v_add_u32_e32 v22, 32, v20
	v_cmp_eq_u32_e64 s[4:5], 3, v16
	v_cmp_eq_u32_e64 s[6:7], 0, v16
	;; [unrolled: 1-line block ×3, first 2 shown]
	v_add_u32_e32 v26, s60, v30
	v_cmp_eq_u32_e64 s[10:11], 2, v16
	v_xor_b32_e32 v16, 4, v19
	s_add_u32 s12, s18, s56
	s_mul_i32 s44, s60, s16
	s_mul_i32 s50, s48, s60
	v_add_u32_e32 v20, s60, v26
	v_cmp_lt_i32_e32 vcc, v16, v22
	s_addc_u32 s13, s19, s57
	s_lshl_b64 s[60:61], s[16:17], 1
	v_cndmask_b32_e32 v16, v19, v16, vcc
	s_add_u32 s17, s43, s60
	s_mul_i32 s63, s36, s33
	v_lshlrev_b32_e32 v62, 2, v16
	v_xor_b32_e32 v16, 8, v19
	s_addc_u32 s36, s39, s61
	v_cmp_lt_i32_e32 vcc, v16, v22
	s_add_u32 s22, s22, s65
	s_addc_u32 s23, s23, s66
	v_cndmask_b32_e32 v16, v19, v16, vcc
	v_lshlrev_b32_e32 v63, 2, v16
	v_xor_b32_e32 v16, 16, v19
	s_add_u32 s22, s22, s17
	s_mov_b32 s49, s27
	v_cmp_lt_i32_e32 vcc, v16, v22
	v_lshlrev_b32_e32 v50, 1, v18
	s_addc_u32 s23, s23, s36
	v_cndmask_b32_e32 v16, v19, v16, vcc
	v_lshl_add_u64 v[18:19], s[22:23], 0, v[50:51]
	s_lshl_b64 s[22:23], s[48:49], 1
	v_and_b32_e32 v25, 7, v54
	v_lshrrev_b32_e32 v23, 3, v54
	s_add_u32 s60, s12, s63
	v_lshlrev_b32_e32 v50, 4, v25
	s_mul_i32 s17, s59, s33
	s_mul_i32 s36, s58, s62
	v_add_u32_e32 v67, v17, v23
	s_addc_u32 s61, s13, s37
	s_add_i32 s36, s36, s17
	v_mad_u64_u32 v[48:49], s[58:59], s58, v24, v[50:51]
	v_add_u32_e32 v49, s36, v49
	v_mul_lo_u32 v28, s38, v67
	v_ashrrev_i32_e32 v31, 31, v30
	v_ashrrev_i32_e32 v27, 31, v26
	;; [unrolled: 1-line block ×3, first 2 shown]
	v_lshlrev_b32_e32 v64, 2, v16
	v_or_b32_e32 v16, v17, v23
	v_add_u32_e32 v33, s64, v33
	v_lshl_add_u64 v[24:25], v[48:49], 0, s[54:55]
	v_ashrrev_i32_e32 v29, 31, v28
	v_lshlrev_b32_e32 v65, 1, v16
	v_lshl_add_u64 v[16:17], v[32:33], 0, v[20:21]
	v_lshl_add_u64 v[22:23], v[32:33], 0, v[26:27]
	;; [unrolled: 1-line block ×7, first 2 shown]
	s_add_u32 s12, s63, s56
	s_addc_u32 s13, s37, s57
	s_add_u32 s12, s18, s12
	v_add_u32_e32 v36, 4, v67
	v_add_u32_e32 v38, 28, v67
	;; [unrolled: 1-line block ×7, first 2 shown]
	v_ashrrev_i32_e32 v35, 31, v34
	v_lshl_add_u64 v[32:33], v[32:33], 0, s[56:57]
	s_addc_u32 s13, s19, s13
	v_mul_lo_u32 v36, s38, v36
	v_mul_lo_u32 v38, s38, v38
	;; [unrolled: 1-line block ×7, first 2 shown]
	v_lshl_add_u64 v[32:33], v[32:33], 0, v[34:35]
	v_lshl_add_u64 v[34:35], s[12:13], 0, v[34:35]
	v_ashrrev_i32_e32 v37, 31, v36
	s_add_u32 s12, s20, s54
	v_ashrrev_i32_e32 v39, 31, v38
	v_ashrrev_i32_e32 v41, 31, v40
	;; [unrolled: 1-line block ×6, first 2 shown]
	v_lshl_add_u64 v[36:37], v[48:49], 0, v[36:37]
	s_addc_u32 s13, s21, s55
	v_lshl_add_u64 v[38:39], v[48:49], 0, v[38:39]
	v_lshl_add_u64 v[40:41], v[48:49], 0, v[40:41]
	;; [unrolled: 1-line block ×6, first 2 shown]
	s_mul_i32 s26, s38, s16
	s_mov_b32 s45, s27
	s_mov_b32 s51, s27
	s_mul_i32 s52, s48, s38
	s_mov_b32 s53, s27
	v_lshlrev_b32_e32 v66, 1, v67
	v_lshl_add_u64 v[18:19], v[18:19], 0, 6
	v_lshl_add_u64 v[20:21], s[60:61], 0, v[20:21]
	;; [unrolled: 1-line block ×14, first 2 shown]
	v_mov_b32_e32 v76, 0xfeffffff
	s_mov_b32 s17, 0x3fb8aa3b
	s_mov_b32 s18, 0xc2ce8ed0
	;; [unrolled: 1-line block ×3, first 2 shown]
	v_mov_b32_e32 v67, 0x7f800000
	v_mov_b32_e32 v69, v51
	;; [unrolled: 1-line block ×9, first 2 shown]
                                        ; implicit-def: $vgpr68
.LBB14_11:                              ; =>This Inner Loop Header: Depth=1
	v_lshl_add_u64 v[80:81], v[32:33], 0, s[44:45]
	v_lshl_add_u64 v[78:79], v[34:35], 0, s[44:45]
	global_load_dword v77, v[80:81], off offset:4
	global_load_dword v82, v[78:79], off offset:-60
	global_load_dword v83, v[80:81], off offset:24
	global_load_dword v84, v[78:79], off offset:-40
	;; [unrolled: 2-line block ×3, first 2 shown]
	global_load_dword v87, v[80:81], off offset:64
	global_load_dword v88, v[78:79], off
	v_mov_b32_e32 v78, 0
	v_mov_b32_e32 v80, 0
	v_mov_b32_e32 v81, 0
	v_mov_b32_e32 v89, 0
	v_mov_b32_e32 v90, 0
	v_mov_b32_e32 v91, 0
	v_mov_b32_e32 v92, 0
	v_mov_b32_e32 v93, 0
	s_and_b64 vcc, exec, s[46:47]
	s_waitcnt vmcnt(7)
	v_and_b32_e32 v79, 0xf0f0f0f, v77
	v_lshrrev_b32_e32 v77, 4, v77
	s_waitcnt vmcnt(6)
	v_cvt_f32_f16_sdwa v95, v82 dst_sel:DWORD dst_unused:UNUSED_PAD src0_sel:WORD_1
	v_and_b32_e32 v77, 0xf0f0f0f, v77
	v_cvt_f32_f16_e32 v94, v82
	s_waitcnt vmcnt(5)
	v_and_b32_e32 v82, 0xf0f0f0f, v83
	s_waitcnt vmcnt(4)
	v_cvt_f32_f16_sdwa v97, v84 dst_sel:DWORD dst_unused:UNUSED_PAD src0_sel:WORD_1
	v_lshrrev_b32_e32 v83, 4, v83
	v_dot4c_i32_i8_e32 v78, v79, v8
	v_dot4c_i32_i8_e32 v80, v77, v9
	v_dot4c_i32_i8_e32 v81, v82, v10
	v_and_b32_e32 v82, 0xf0f0f0f, v83
	v_cvt_f32_i32_e32 v79, v78
	v_cvt_f32_i32_e32 v78, v80
	v_cvt_f32_f16_e32 v96, v84
	s_waitcnt vmcnt(3)
	v_and_b32_e32 v84, 0xf0f0f0f, v85
	s_waitcnt vmcnt(2)
	v_cvt_f32_f16_sdwa v99, v86 dst_sel:DWORD dst_unused:UNUSED_PAD src0_sel:WORD_1
	v_lshrrev_b32_e32 v85, 4, v85
	v_dot4c_i32_i8_e32 v89, v82, v11
	v_cvt_f32_f16_e32 v98, v86
	s_waitcnt vmcnt(1)
	v_and_b32_e32 v86, 0xf0f0f0f, v87
	v_lshrrev_b32_e32 v87, 4, v87
	v_and_b32_e32 v83, 0xf0f0f0f, v85
	v_cvt_f32_i32_e32 v81, v81
	v_cvt_f32_i32_e32 v80, v89
	v_mul_f32_e32 v77, v1, v95
	s_waitcnt vmcnt(0)
	v_cvt_f32_f16_sdwa v101, v88 dst_sel:DWORD dst_unused:UNUSED_PAD src0_sel:WORD_1
	v_dot4c_i32_i8_e32 v90, v84, v12
	v_dot4c_i32_i8_e32 v92, v86, v14
	v_and_b32_e32 v84, 0xf0f0f0f, v87
	v_dot4c_i32_i8_e32 v91, v83, v13
	v_mul_f32_e32 v86, v0, v94
	v_mul_f32_e32 v87, v3, v97
	;; [unrolled: 1-line block ×3, first 2 shown]
	v_cvt_f32_i32_e32 v83, v90
	v_cvt_f32_i32_e32 v82, v91
	v_pk_fma_f32 v[78:79], v[86:87], v[78:79], v[94:95] op_sel_hi:[0,1,0]
	v_cvt_f32_f16_e32 v100, v88
	v_dot4c_i32_i8_e32 v93, v84, v15
	v_mul_f32_e32 v88, v2, v96
	v_mul_f32_e32 v89, v5, v99
	;; [unrolled: 1-line block ×3, first 2 shown]
	v_add_f32_e32 v77, 0, v79
	v_cvt_f32_i32_e32 v85, v92
	v_cvt_f32_i32_e32 v84, v93
	v_pk_fma_f32 v[80:81], v[88:89], v[80:81], v[96:97] op_sel_hi:[0,1,0]
	v_add_f32_e32 v77, v78, v77
	v_mul_f32_e32 v90, v4, v98
	v_mul_f32_e32 v91, v7, v101
	;; [unrolled: 1-line block ×3, first 2 shown]
	v_add_f32_e32 v77, v77, v81
	v_pk_fma_f32 v[82:83], v[90:91], v[82:83], v[98:99] op_sel_hi:[0,1,0]
	v_add_f32_e32 v77, v80, v77
	v_mul_f32_e32 v92, v6, v100
	v_mul_f32_e32 v100, 0x3e000000, v91
	v_add_f32_e32 v77, v77, v83
	v_pk_fma_f32 v[84:85], v[92:93], v[84:85], v[100:101] op_sel_hi:[0,1,0]
	v_add_f32_e32 v77, v82, v77
	v_add_f32_e32 v77, v77, v85
	;; [unrolled: 1-line block ×3, first 2 shown]
	ds_bpermute_b32 v78, v60, v77
	s_waitcnt lgkmcnt(0)
	v_add_f32_e32 v77, v77, v78
	ds_bpermute_b32 v78, v61, v77
	s_waitcnt lgkmcnt(0)
	v_add_f32_e32 v77, v77, v78
	s_cbranch_vccz .LBB14_13
; %bb.12:                               ;   in Loop: Header=BB14_11 Depth=1
	global_load_ushort v78, v[18:19], off offset:-6
	s_waitcnt vmcnt(0)
	v_fma_mix_f32 v77, v59, v78, v77 op_sel_hi:[0,1,0]
.LBB14_13:                              ;   in Loop: Header=BB14_11 Depth=1
	v_lshl_add_u64 v[80:81], v[28:29], 0, s[44:45]
	v_lshl_add_u64 v[78:79], v[30:31], 0, s[44:45]
	global_load_dword v82, v[80:81], off offset:4
	global_load_dword v83, v[78:79], off
	global_load_dword v84, v[80:81], off offset:24
	global_load_dword v85, v[78:79], off offset:20
	;; [unrolled: 1-line block ×6, first 2 shown]
	v_mov_b32_e32 v78, 0
	v_mov_b32_e32 v80, 0
	;; [unrolled: 1-line block ×8, first 2 shown]
	s_andn2_b64 vcc, exec, s[46:47]
	s_waitcnt vmcnt(7)
	v_and_b32_e32 v79, 0xf0f0f0f, v82
	v_lshrrev_b32_e32 v82, 4, v82
	s_waitcnt vmcnt(6)
	v_cvt_f32_f16_sdwa v96, v83 dst_sel:DWORD dst_unused:UNUSED_PAD src0_sel:WORD_1
	v_dot4c_i32_i8_e32 v78, v79, v8
	v_and_b32_e32 v79, 0xf0f0f0f, v82
	v_cvt_f32_f16_e32 v95, v83
	s_waitcnt vmcnt(5)
	v_and_b32_e32 v83, 0xf0f0f0f, v84
	v_lshrrev_b32_e32 v84, 4, v84
	s_waitcnt vmcnt(2)
	v_cvt_f32_f16_e32 v99, v87
	v_cvt_f32_f16_sdwa v87, v87 dst_sel:DWORD dst_unused:UNUSED_PAD src0_sel:WORD_1
	v_dot4c_i32_i8_e32 v80, v79, v9
	v_cvt_f32_f16_e32 v97, v85
	v_cvt_f32_f16_sdwa v98, v85 dst_sel:DWORD dst_unused:UNUSED_PAD src0_sel:WORD_1
	v_and_b32_e32 v85, 0xf0f0f0f, v86
	v_lshrrev_b32_e32 v86, 4, v86
	s_waitcnt vmcnt(1)
	v_and_b32_e32 v100, 0xf0f0f0f, v88
	v_lshrrev_b32_e32 v88, 4, v88
	v_and_b32_e32 v82, 0xf0f0f0f, v84
	v_cvt_f32_i32_e32 v79, v78
	v_cvt_f32_i32_e32 v78, v80
	s_waitcnt vmcnt(0)
	v_cvt_f32_f16_e32 v101, v89
	v_cvt_f32_f16_sdwa v89, v89 dst_sel:DWORD dst_unused:UNUSED_PAD src0_sel:WORD_1
	v_dot4c_i32_i8_e32 v81, v83, v10
	v_dot4c_i32_i8_e32 v91, v85, v12
	v_and_b32_e32 v83, 0xf0f0f0f, v86
	v_and_b32_e32 v84, 0xf0f0f0f, v88
	v_dot4c_i32_i8_e32 v90, v82, v11
	v_cvt_f32_i32_e32 v81, v81
	v_dot4c_i32_i8_e32 v92, v83, v13
	v_cvt_f32_i32_e32 v83, v91
	;; [unrolled: 2-line block ×3, first 2 shown]
	v_mul_f32_e32 v91, v1, v96
	v_dot4c_i32_i8_e32 v93, v100, v14
	v_cvt_f32_i32_e32 v84, v94
	v_mul_f32_e32 v86, v0, v95
	v_mul_f32_e32 v87, v5, v87
	;; [unrolled: 1-line block ×3, first 2 shown]
	v_cvt_f32_i32_e32 v85, v93
	v_cvt_f32_i32_e32 v82, v92
	v_mul_f32_e32 v93, v3, v98
	v_pk_fma_f32 v[78:79], v[86:87], v[78:79], v[94:95] op_sel_hi:[0,1,0]
	v_mul_f32_e32 v88, v2, v97
	v_mul_f32_e32 v89, v7, v89
	;; [unrolled: 1-line block ×3, first 2 shown]
	v_add_f32_e32 v79, 0, v79
	v_pk_fma_f32 v[80:81], v[88:89], v[80:81], v[96:97] op_sel_hi:[0,1,0]
	v_add_f32_e32 v78, v78, v79
	v_mul_f32_e32 v90, v4, v99
	v_mul_f32_e32 v98, 0x3e000000, v87
	v_add_f32_e32 v78, v78, v81
	v_pk_fma_f32 v[82:83], v[90:91], v[82:83], v[98:99] op_sel_hi:[0,1,0]
	v_add_f32_e32 v78, v80, v78
	v_mul_f32_e32 v92, v6, v101
	v_mul_f32_e32 v100, 0x3e000000, v89
	v_add_f32_e32 v78, v78, v83
	v_add_f32_e32 v80, v82, v78
	v_pk_fma_f32 v[78:79], v[92:93], v[84:85], v[100:101] op_sel_hi:[0,1,0]
	v_add_f32_e32 v79, v80, v79
	v_add_f32_e32 v78, v78, v79
	ds_bpermute_b32 v79, v60, v78
	v_cndmask_b32_e64 v80, 0, 1, s[46:47]
	v_cmp_ne_u32_e64 s[12:13], 1, v80
	s_waitcnt lgkmcnt(0)
	v_add_f32_e32 v78, v78, v79
	ds_bpermute_b32 v79, v61, v78
	s_waitcnt lgkmcnt(0)
	v_add_f32_e32 v78, v78, v79
	s_cbranch_vccnz .LBB14_15
; %bb.14:                               ;   in Loop: Header=BB14_11 Depth=1
	global_load_ushort v79, v[18:19], off offset:-4
	s_waitcnt vmcnt(0)
	v_fma_mix_f32 v78, v59, v79, v78 op_sel_hi:[0,1,0]
.LBB14_15:                              ;   in Loop: Header=BB14_11 Depth=1
	v_lshl_add_u64 v[82:83], v[22:23], 0, s[44:45]
	v_lshl_add_u64 v[80:81], v[26:27], 0, s[44:45]
	global_load_dword v79, v[82:83], off offset:4
	global_load_dword v84, v[80:81], off
	global_load_dword v85, v[82:83], off offset:24
	global_load_dword v86, v[80:81], off offset:20
	global_load_dword v87, v[82:83], off offset:44
	global_load_dword v88, v[80:81], off offset:40
	global_load_dword v89, v[82:83], off offset:64
	global_load_dword v90, v[80:81], off offset:60
	v_mov_b32_e32 v80, 0
	v_mov_b32_e32 v82, 0
	;; [unrolled: 1-line block ×8, first 2 shown]
	s_and_b64 vcc, exec, s[12:13]
	s_waitcnt vmcnt(7)
	v_and_b32_e32 v81, 0xf0f0f0f, v79
	v_lshrrev_b32_e32 v79, 4, v79
	s_waitcnt vmcnt(6)
	v_cvt_f32_f16_sdwa v97, v84 dst_sel:DWORD dst_unused:UNUSED_PAD src0_sel:WORD_1
	v_and_b32_e32 v79, 0xf0f0f0f, v79
	v_cvt_f32_f16_e32 v96, v84
	s_waitcnt vmcnt(5)
	v_and_b32_e32 v84, 0xf0f0f0f, v85
	s_waitcnt vmcnt(4)
	v_cvt_f32_f16_sdwa v99, v86 dst_sel:DWORD dst_unused:UNUSED_PAD src0_sel:WORD_1
	v_lshrrev_b32_e32 v85, 4, v85
	v_dot4c_i32_i8_e32 v80, v81, v8
	v_dot4c_i32_i8_e32 v82, v79, v9
	;; [unrolled: 1-line block ×3, first 2 shown]
	v_and_b32_e32 v84, 0xf0f0f0f, v85
	v_cvt_f32_i32_e32 v81, v80
	v_cvt_f32_i32_e32 v80, v82
	v_cvt_f32_f16_e32 v98, v86
	s_waitcnt vmcnt(3)
	v_and_b32_e32 v86, 0xf0f0f0f, v87
	s_waitcnt vmcnt(2)
	v_cvt_f32_f16_sdwa v101, v88 dst_sel:DWORD dst_unused:UNUSED_PAD src0_sel:WORD_1
	v_lshrrev_b32_e32 v87, 4, v87
	v_dot4c_i32_i8_e32 v91, v84, v11
	v_cvt_f32_f16_e32 v100, v88
	s_waitcnt vmcnt(1)
	v_and_b32_e32 v88, 0xf0f0f0f, v89
	v_lshrrev_b32_e32 v89, 4, v89
	v_and_b32_e32 v85, 0xf0f0f0f, v87
	v_cvt_f32_i32_e32 v83, v83
	v_cvt_f32_i32_e32 v82, v91
	v_mul_f32_e32 v79, v1, v97
	s_waitcnt vmcnt(0)
	v_cvt_f32_f16_sdwa v103, v90 dst_sel:DWORD dst_unused:UNUSED_PAD src0_sel:WORD_1
	v_dot4c_i32_i8_e32 v92, v86, v12
	v_dot4c_i32_i8_e32 v94, v88, v14
	v_and_b32_e32 v86, 0xf0f0f0f, v89
	v_dot4c_i32_i8_e32 v93, v85, v13
	v_mul_f32_e32 v88, v0, v96
	v_mul_f32_e32 v89, v3, v99
	;; [unrolled: 1-line block ×3, first 2 shown]
	v_cvt_f32_i32_e32 v85, v92
	v_cvt_f32_i32_e32 v84, v93
	v_pk_fma_f32 v[80:81], v[88:89], v[80:81], v[96:97] op_sel_hi:[0,1,0]
	v_cvt_f32_f16_e32 v102, v90
	v_dot4c_i32_i8_e32 v95, v86, v15
	v_mul_f32_e32 v90, v2, v98
	v_mul_f32_e32 v91, v5, v101
	;; [unrolled: 1-line block ×3, first 2 shown]
	v_add_f32_e32 v79, 0, v81
	v_cvt_f32_i32_e32 v87, v94
	v_cvt_f32_i32_e32 v86, v95
	v_pk_fma_f32 v[82:83], v[90:91], v[82:83], v[98:99] op_sel_hi:[0,1,0]
	v_add_f32_e32 v79, v80, v79
	v_mul_f32_e32 v92, v4, v100
	v_mul_f32_e32 v93, v7, v103
	;; [unrolled: 1-line block ×3, first 2 shown]
	v_add_f32_e32 v79, v79, v83
	v_pk_fma_f32 v[84:85], v[92:93], v[84:85], v[100:101] op_sel_hi:[0,1,0]
	v_add_f32_e32 v79, v82, v79
	v_mul_f32_e32 v94, v6, v102
	v_mul_f32_e32 v102, 0x3e000000, v93
	v_add_f32_e32 v79, v79, v85
	v_add_f32_e32 v79, v84, v79
	v_pk_fma_f32 v[80:81], v[94:95], v[86:87], v[102:103] op_sel_hi:[0,1,0]
	v_add_f32_e32 v79, v79, v81
	v_add_f32_e32 v79, v80, v79
	ds_bpermute_b32 v80, v60, v79
	s_waitcnt lgkmcnt(0)
	v_add_f32_e32 v79, v79, v80
	ds_bpermute_b32 v80, v61, v79
	s_waitcnt lgkmcnt(0)
	v_add_f32_e32 v79, v79, v80
	s_cbranch_vccnz .LBB14_17
; %bb.16:                               ;   in Loop: Header=BB14_11 Depth=1
	global_load_ushort v80, v[18:19], off offset:-2
	s_waitcnt vmcnt(0)
	v_fma_mix_f32 v79, v59, v80, v79 op_sel_hi:[0,1,0]
.LBB14_17:                              ;   in Loop: Header=BB14_11 Depth=1
	v_lshl_add_u64 v[82:83], v[16:17], 0, s[44:45]
	v_lshl_add_u64 v[80:81], v[20:21], 0, s[44:45]
	global_load_dword v84, v[82:83], off offset:4
	global_load_dword v85, v[80:81], off
	global_load_dword v86, v[82:83], off offset:24
	global_load_dword v87, v[80:81], off offset:20
	global_load_dword v88, v[82:83], off offset:44
	global_load_dword v89, v[80:81], off offset:40
	global_load_dword v90, v[82:83], off offset:64
	global_load_dword v91, v[80:81], off offset:60
	v_mov_b32_e32 v80, 0
	v_mov_b32_e32 v82, 0
	;; [unrolled: 1-line block ×8, first 2 shown]
	s_and_b64 vcc, exec, s[12:13]
	s_waitcnt vmcnt(7)
	v_and_b32_e32 v81, 0xf0f0f0f, v84
	v_lshrrev_b32_e32 v84, 4, v84
	s_waitcnt vmcnt(6)
	v_cvt_f32_f16_sdwa v98, v85 dst_sel:DWORD dst_unused:UNUSED_PAD src0_sel:WORD_1
	v_dot4c_i32_i8_e32 v80, v81, v8
	v_and_b32_e32 v81, 0xf0f0f0f, v84
	v_cvt_f32_f16_e32 v97, v85
	s_waitcnt vmcnt(5)
	v_and_b32_e32 v85, 0xf0f0f0f, v86
	v_lshrrev_b32_e32 v86, 4, v86
	s_waitcnt vmcnt(2)
	v_cvt_f32_f16_e32 v101, v89
	v_cvt_f32_f16_sdwa v89, v89 dst_sel:DWORD dst_unused:UNUSED_PAD src0_sel:WORD_1
	v_dot4c_i32_i8_e32 v82, v81, v9
	v_cvt_f32_f16_e32 v99, v87
	v_cvt_f32_f16_sdwa v100, v87 dst_sel:DWORD dst_unused:UNUSED_PAD src0_sel:WORD_1
	v_and_b32_e32 v87, 0xf0f0f0f, v88
	v_lshrrev_b32_e32 v88, 4, v88
	s_waitcnt vmcnt(1)
	v_and_b32_e32 v102, 0xf0f0f0f, v90
	v_lshrrev_b32_e32 v90, 4, v90
	v_and_b32_e32 v84, 0xf0f0f0f, v86
	v_cvt_f32_i32_e32 v81, v80
	v_cvt_f32_i32_e32 v80, v82
	s_waitcnt vmcnt(0)
	v_cvt_f32_f16_e32 v103, v91
	v_cvt_f32_f16_sdwa v91, v91 dst_sel:DWORD dst_unused:UNUSED_PAD src0_sel:WORD_1
	v_dot4c_i32_i8_e32 v83, v85, v10
	v_dot4c_i32_i8_e32 v93, v87, v12
	v_and_b32_e32 v85, 0xf0f0f0f, v88
	v_and_b32_e32 v86, 0xf0f0f0f, v90
	v_dot4c_i32_i8_e32 v92, v84, v11
	v_cvt_f32_i32_e32 v83, v83
	v_dot4c_i32_i8_e32 v94, v85, v13
	v_cvt_f32_i32_e32 v85, v93
	;; [unrolled: 2-line block ×3, first 2 shown]
	v_mul_f32_e32 v93, v1, v98
	v_dot4c_i32_i8_e32 v95, v102, v14
	v_cvt_f32_i32_e32 v86, v96
	v_mul_f32_e32 v88, v0, v97
	v_mul_f32_e32 v89, v5, v89
	;; [unrolled: 1-line block ×3, first 2 shown]
	v_cvt_f32_i32_e32 v87, v95
	v_cvt_f32_i32_e32 v84, v94
	v_mul_f32_e32 v95, v3, v100
	v_pk_fma_f32 v[80:81], v[88:89], v[80:81], v[96:97] op_sel_hi:[0,1,0]
	v_mul_f32_e32 v90, v2, v99
	v_mul_f32_e32 v91, v7, v91
	;; [unrolled: 1-line block ×3, first 2 shown]
	v_add_f32_e32 v81, 0, v81
	v_pk_fma_f32 v[82:83], v[90:91], v[82:83], v[98:99] op_sel_hi:[0,1,0]
	v_add_f32_e32 v80, v80, v81
	v_mul_f32_e32 v92, v4, v101
	v_mul_f32_e32 v100, 0x3e000000, v89
	v_add_f32_e32 v80, v80, v83
	v_pk_fma_f32 v[84:85], v[92:93], v[84:85], v[100:101] op_sel_hi:[0,1,0]
	v_add_f32_e32 v80, v82, v80
	v_mul_f32_e32 v94, v6, v103
	v_mul_f32_e32 v102, 0x3e000000, v91
	v_add_f32_e32 v80, v80, v85
	v_add_f32_e32 v82, v84, v80
	v_pk_fma_f32 v[80:81], v[94:95], v[86:87], v[102:103] op_sel_hi:[0,1,0]
	v_add_f32_e32 v81, v82, v81
	v_add_f32_e32 v80, v80, v81
	ds_bpermute_b32 v81, v60, v80
	s_waitcnt lgkmcnt(0)
	v_add_f32_e32 v80, v80, v81
	ds_bpermute_b32 v81, v61, v80
	s_waitcnt lgkmcnt(0)
	v_add_f32_e32 v80, v80, v81
	s_cbranch_vccnz .LBB14_19
; %bb.18:                               ;   in Loop: Header=BB14_11 Depth=1
	global_load_ushort v81, v[18:19], off
	s_waitcnt vmcnt(0)
	v_fma_mix_f32 v80, v59, v81, v80 op_sel_hi:[0,1,0]
.LBB14_19:                              ;   in Loop: Header=BB14_11 Depth=1
	v_add_f32_e32 v81, 0x40051340, v77
	v_add_f32_e32 v88, 0x40051340, v78
	v_max3_f32 v81, v76, v81, v88
	v_add_f32_e32 v88, 0x40051340, v79
	v_add_f32_e32 v89, 0x40051340, v80
	v_max3_f32 v81, v81, v88, v89
	ds_bpermute_b32 v88, v62, v81
	v_cndmask_b32_e64 v68, v68, v77, s[6:7]
	v_cndmask_b32_e64 v68, v68, v78, s[8:9]
	;; [unrolled: 1-line block ×4, first 2 shown]
	s_waitcnt lgkmcnt(0)
	v_max_f32_e32 v88, v88, v88
	v_max_f32_e32 v81, v81, v88
	ds_bpermute_b32 v90, v63, v81
	v_lshl_add_u64 v[86:87], v[24:25], 0, s[26:27]
	global_load_dwordx4 v[82:85], v[86:87], off
	v_lshl_add_u64 v[94:95], v[36:37], 0, s[26:27]
	global_load_dwordx4 v[86:89], v[86:87], off offset:128
	s_waitcnt lgkmcnt(0)
	v_max_f32_e32 v77, v90, v90
	v_max_f32_e32 v77, v81, v77
	ds_bpermute_b32 v81, v64, v77
	global_load_dwordx4 v[90:93], v[94:95], off
	v_lshl_add_u64 v[98:99], v[40:41], 0, s[26:27]
	s_add_i32 s16, s16, s48
	v_lshl_add_u64 v[16:17], v[16:17], 0, s[50:51]
	s_waitcnt lgkmcnt(0)
	v_max_f32_e32 v78, v81, v81
	v_max_f32_e32 v77, v77, v78
	v_sub_f32_e32 v76, v76, v77
	v_sub_f32_e32 v68, v68, v77
	v_mul_f32_e32 v78, 0x3fb8aa3b, v76
	v_mul_f32_e32 v79, 0x3fb8aa3b, v68
	v_fma_f32 v80, v76, s17, -v78
	v_rndne_f32_e32 v81, v78
	v_fma_f32 v96, v68, s17, -v79
	v_rndne_f32_e32 v97, v79
	v_fmac_f32_e32 v80, 0x32a5705f, v76
	v_sub_f32_e32 v78, v78, v81
	v_fmac_f32_e32 v96, 0x32a5705f, v68
	v_sub_f32_e32 v79, v79, v97
	v_add_f32_e32 v78, v78, v80
	v_cvt_i32_f32_e32 v100, v81
	v_add_f32_e32 v79, v79, v96
	v_exp_f32_e32 v96, v78
	v_cvt_i32_f32_e32 v97, v97
	v_exp_f32_e32 v101, v79
	global_load_dwordx4 v[78:81], v[94:95], off offset:128
	v_ldexp_f32 v94, v96, v100
	v_cmp_ngt_f32_e32 vcc, s18, v76
	v_ldexp_f32 v95, v101, v97
	v_lshl_add_u64 v[18:19], v[18:19], 0, s[22:23]
	v_cndmask_b32_e32 v94, 0, v94, vcc
	v_cmp_ngt_f32_e32 vcc, s18, v68
	v_lshl_add_u64 v[20:21], v[20:21], 0, s[50:51]
	v_lshl_add_u64 v[22:23], v[22:23], 0, s[50:51]
	v_cndmask_b32_e32 v95, 0, v95, vcc
	v_cmp_nlt_f32_e32 vcc, s19, v76
	v_lshl_add_u64 v[24:25], v[24:25], 0, s[52:53]
	v_lshl_add_u64 v[26:27], v[26:27], 0, s[50:51]
	v_cndmask_b32_e32 v76, v67, v94, vcc
	v_cmp_nlt_f32_e32 vcc, s19, v68
	v_cvt_f16_f32_e32 v100, v76
	v_lshl_add_u64 v[28:29], v[28:29], 0, s[50:51]
	v_cndmask_b32_e32 v68, v67, v95, vcc
	global_load_dwordx4 v[94:97], v[98:99], off
	v_cvt_f16_f32_e32 v101, v68
	v_fma_f32 v50, v50, v76, v68
	v_mul_u32_u24_e32 v76, 0x10001, v100
	v_pk_mul_f16 v69, v69, v76
	ds_write_b16 v57, v101
	v_pk_mul_f16 v100, v72, v76
	v_pk_mul_f16 v101, v70, v76
	;; [unrolled: 1-line block ×7, first 2 shown]
	ds_read_u16 v70, v65
	ds_read_u16 v76, v65 offset:32
	ds_read_u16 v106, v66 offset:8
	;; [unrolled: 1-line block ×7, first 2 shown]
	s_waitcnt lgkmcnt(7)
	v_mul_u32_u24_e32 v112, 0x10001, v70
	s_waitcnt lgkmcnt(6)
	v_mul_u32_u24_e32 v76, 0x10001, v76
	v_lshl_add_u64 v[30:31], v[30:31], 0, s[50:51]
	v_lshl_add_u64 v[32:33], v[32:33], 0, s[50:51]
	;; [unrolled: 1-line block ×5, first 2 shown]
	s_cmp_ge_i32 s16, s42
	s_waitcnt vmcnt(4)
	v_lshlrev_b32_e32 v70, 16, v82
	v_and_b32_e32 v71, 0xffff0000, v82
	v_lshlrev_b32_e32 v74, 16, v83
	v_and_b32_e32 v75, 0xffff0000, v83
	;; [unrolled: 2-line block ×4, first 2 shown]
	v_cvt_pk_f16_f32 v113, v70, v71
	global_load_dwordx4 v[70:73], v[98:99], off offset:128
	v_cvt_pk_f16_f32 v74, v74, v75
	v_cvt_pk_f16_f32 v75, v82, v83
	;; [unrolled: 1-line block ×3, first 2 shown]
	v_pk_fma_f16 v98, v74, v112, v100
	v_pk_fma_f16 v99, v75, v112, v101
	;; [unrolled: 1-line block ×3, first 2 shown]
	s_waitcnt vmcnt(4)
	v_lshlrev_b32_e32 v74, 16, v86
	v_and_b32_e32 v75, 0xffff0000, v86
	v_lshlrev_b32_e32 v82, 16, v87
	v_and_b32_e32 v83, 0xffff0000, v87
	;; [unrolled: 2-line block ×4, first 2 shown]
	v_cvt_pk_f16_f32 v101, v74, v75
	v_lshl_add_u64 v[74:75], v[44:45], 0, s[26:27]
	v_cvt_pk_f16_f32 v86, v86, v87
	v_cvt_pk_f16_f32 v87, v88, v89
	;; [unrolled: 1-line block ×3, first 2 shown]
	global_load_dwordx4 v[82:85], v[74:75], off
	v_pk_fma_f16 v101, v101, v112, v103
	v_pk_fma_f16 v103, v86, v112, v105
	;; [unrolled: 1-line block ×3, first 2 shown]
	s_waitcnt vmcnt(4)
	v_lshlrev_b32_e32 v86, 16, v90
	v_and_b32_e32 v87, 0xffff0000, v90
	v_lshlrev_b32_e32 v90, 16, v91
	v_and_b32_e32 v91, 0xffff0000, v91
	;; [unrolled: 2-line block ×3, first 2 shown]
	v_pk_fma_f16 v69, v113, v112, v69
	v_pk_fma_f16 v102, v102, v112, v104
	s_waitcnt lgkmcnt(5)
	v_mul_u32_u24_e32 v104, 0x10001, v106
	v_cvt_pk_f16_f32 v112, v86, v87
	global_load_dwordx4 v[86:89], v[74:75], off offset:128
	v_cvt_pk_f16_f32 v74, v90, v91
	v_cvt_pk_f16_f32 v75, v105, v92
	v_lshlrev_b32_e32 v106, 16, v93
	v_and_b32_e32 v93, 0xffff0000, v93
	v_pk_fma_f16 v98, v74, v104, v98
	v_pk_fma_f16 v99, v75, v104, v99
	s_waitcnt vmcnt(4)
	v_lshlrev_b32_e32 v74, 16, v78
	v_and_b32_e32 v75, 0xffff0000, v78
	v_cvt_pk_f16_f32 v90, v106, v93
	v_lshlrev_b32_e32 v78, 16, v79
	v_and_b32_e32 v79, 0xffff0000, v79
	v_cvt_pk_f16_f32 v105, v74, v75
	v_lshl_add_u64 v[74:75], v[48:49], 0, s[26:27]
	v_pk_fma_f16 v100, v90, v104, v100
	v_lshlrev_b32_e32 v90, 16, v80
	v_and_b32_e32 v91, 0xffff0000, v80
	v_lshlrev_b32_e32 v92, 16, v81
	v_and_b32_e32 v93, 0xffff0000, v81
	v_cvt_pk_f16_f32 v106, v78, v79
	global_load_dwordx4 v[78:81], v[74:75], off
	v_cvt_pk_f16_f32 v90, v90, v91
	v_cvt_pk_f16_f32 v91, v92, v93
	v_pk_fma_f16 v103, v90, v104, v103
	v_pk_fma_f16 v51, v91, v104, v51
	s_waitcnt vmcnt(4)
	v_lshlrev_b32_e32 v90, 16, v94
	v_and_b32_e32 v91, 0xffff0000, v94
	v_pk_fma_f16 v69, v112, v104, v69
	v_pk_fma_f16 v101, v105, v104, v101
	;; [unrolled: 1-line block ×3, first 2 shown]
	s_waitcnt lgkmcnt(4)
	v_mul_u32_u24_e32 v104, 0x10001, v107
	v_cvt_pk_f16_f32 v107, v90, v91
	global_load_dwordx4 v[90:93], v[74:75], off offset:128
	v_lshlrev_b32_e32 v94, 16, v95
	v_and_b32_e32 v95, 0xffff0000, v95
	v_lshlrev_b32_e32 v105, 16, v96
	v_and_b32_e32 v96, 0xffff0000, v96
	;; [unrolled: 2-line block ×3, first 2 shown]
	v_cvt_pk_f16_f32 v74, v94, v95
	v_cvt_pk_f16_f32 v75, v105, v96
	;; [unrolled: 1-line block ×3, first 2 shown]
	v_pk_fma_f16 v95, v74, v104, v98
	v_pk_fma_f16 v96, v75, v104, v99
	;; [unrolled: 1-line block ×4, first 2 shown]
	s_waitcnt vmcnt(4)
	v_lshlrev_b32_e32 v74, 16, v70
	v_and_b32_e32 v70, 0xffff0000, v70
	v_lshlrev_b32_e32 v75, 16, v71
	v_and_b32_e32 v71, 0xffff0000, v71
	;; [unrolled: 2-line block ×4, first 2 shown]
	v_cvt_pk_f16_f32 v105, v74, v70
	v_cvt_pk_f16_f32 v106, v75, v71
	v_lshl_add_u64 v[74:75], v[46:47], 0, s[26:27]
	global_load_dwordx4 v[70:73], v[74:75], off
	v_cvt_pk_f16_f32 v97, v97, v98
	v_cvt_pk_f16_f32 v98, v99, v100
	v_pk_fma_f16 v99, v105, v104, v101
	v_pk_fma_f16 v100, v106, v104, v102
	;; [unrolled: 1-line block ×4, first 2 shown]
	s_waitcnt lgkmcnt(3)
	v_mul_u32_u24_e32 v98, 0x10001, v108
	v_lshl_add_u64 v[44:45], v[44:45], 0, s[52:53]
	s_waitcnt vmcnt(4)
	v_lshlrev_b32_e32 v101, 16, v82
	v_and_b32_e32 v82, 0xffff0000, v82
	v_lshlrev_b32_e32 v102, 16, v83
	v_and_b32_e32 v103, 0xffff0000, v83
	;; [unrolled: 2-line block ×4, first 2 shown]
	v_cvt_pk_f16_f32 v101, v101, v82
	global_load_dwordx4 v[82:85], v[74:75], off offset:128
	v_cvt_pk_f16_f32 v74, v102, v103
	v_cvt_pk_f16_f32 v75, v104, v105
	;; [unrolled: 1-line block ×3, first 2 shown]
	v_pk_fma_f16 v69, v101, v98, v69
	v_pk_fma_f16 v101, v74, v98, v95
	;; [unrolled: 1-line block ×4, first 2 shown]
	s_waitcnt vmcnt(4)
	v_lshlrev_b32_e32 v94, 16, v86
	v_and_b32_e32 v95, 0xffff0000, v86
	v_lshlrev_b32_e32 v96, 16, v87
	v_and_b32_e32 v104, 0xffff0000, v87
	;; [unrolled: 2-line block ×3, first 2 shown]
	v_lshl_add_u64 v[74:75], v[42:43], 0, s[26:27]
	v_lshlrev_b32_e32 v107, 16, v89
	v_and_b32_e32 v108, 0xffff0000, v89
	global_load_dwordx4 v[86:89], v[74:75], off
	v_cvt_pk_f16_f32 v94, v94, v95
	v_cvt_pk_f16_f32 v95, v96, v104
	;; [unrolled: 1-line block ×4, first 2 shown]
	v_pk_fma_f16 v99, v94, v98, v99
	v_pk_fma_f16 v100, v95, v98, v100
	v_pk_fma_f16 v105, v96, v98, v97
	global_load_dwordx4 v[94:97], v[74:75], off offset:128
	s_waitcnt vmcnt(5)
	v_lshlrev_b32_e32 v74, 16, v81
	v_and_b32_e32 v75, 0xffff0000, v81
	v_pk_fma_f16 v51, v104, v98, v51
	v_lshlrev_b32_e32 v98, 16, v78
	v_and_b32_e32 v78, 0xffff0000, v78
	v_lshlrev_b32_e32 v104, 16, v79
	v_and_b32_e32 v79, 0xffff0000, v79
	;; [unrolled: 2-line block ×3, first 2 shown]
	v_cvt_pk_f16_f32 v74, v74, v75
	v_cvt_pk_f16_f32 v78, v98, v78
	;; [unrolled: 1-line block ×4, first 2 shown]
	v_pk_fma_f16 v102, v74, v76, v102
	v_lshl_add_u64 v[74:75], v[38:39], 0, s[26:27]
	v_pk_fma_f16 v69, v78, v76, v69
	v_pk_fma_f16 v98, v79, v76, v101
	;; [unrolled: 1-line block ×3, first 2 shown]
	s_waitcnt vmcnt(4)
	v_lshlrev_b32_e32 v103, 16, v90
	v_and_b32_e32 v90, 0xffff0000, v90
	v_lshlrev_b32_e32 v104, 16, v91
	v_and_b32_e32 v91, 0xffff0000, v91
	v_lshlrev_b32_e32 v106, 16, v92
	global_load_dwordx4 v[78:81], v[74:75], off
	v_and_b32_e32 v92, 0xffff0000, v92
	v_lshlrev_b32_e32 v107, 16, v93
	v_and_b32_e32 v93, 0xffff0000, v93
	v_cvt_pk_f16_f32 v90, v103, v90
	v_cvt_pk_f16_f32 v91, v104, v91
	;; [unrolled: 1-line block ×4, first 2 shown]
	v_pk_fma_f16 v99, v90, v76, v99
	v_pk_fma_f16 v100, v91, v76, v100
	;; [unrolled: 1-line block ×4, first 2 shown]
	global_load_dwordx4 v[90:93], v[74:75], off offset:128
	s_waitcnt vmcnt(5)
	v_lshlrev_b32_e32 v104, 16, v70
	v_and_b32_e32 v70, 0xffff0000, v70
	v_lshlrev_b32_e32 v105, 16, v71
	v_and_b32_e32 v71, 0xffff0000, v71
	;; [unrolled: 2-line block ×4, first 2 shown]
	s_waitcnt lgkmcnt(2)
	v_mul_u32_u24_e32 v76, 0x10001, v109
	v_cvt_pk_f16_f32 v70, v104, v70
	v_cvt_pk_f16_f32 v71, v105, v71
	;; [unrolled: 1-line block ×4, first 2 shown]
	v_pk_fma_f16 v69, v70, v76, v69
	v_pk_fma_f16 v70, v71, v76, v98
	;; [unrolled: 1-line block ×4, first 2 shown]
	v_lshl_add_u64 v[38:39], v[38:39], 0, s[52:53]
	s_waitcnt vmcnt(4)
	v_lshlrev_b32_e32 v73, 16, v82
	v_and_b32_e32 v74, 0xffff0000, v82
	v_lshlrev_b32_e32 v75, 16, v83
	v_and_b32_e32 v82, 0xffff0000, v83
	;; [unrolled: 2-line block ×4, first 2 shown]
	v_cvt_pk_f16_f32 v73, v73, v74
	v_cvt_pk_f16_f32 v74, v75, v82
	v_cvt_pk_f16_f32 v82, v98, v85
	v_cvt_pk_f16_f32 v75, v83, v84
	v_pk_fma_f16 v51, v82, v76, v51
	v_pk_fma_f16 v73, v73, v76, v99
	;; [unrolled: 1-line block ×4, first 2 shown]
	s_waitcnt lgkmcnt(1)
	v_mul_u32_u24_e32 v76, 0x10001, v110
	s_waitcnt vmcnt(3)
	v_lshlrev_b32_e32 v82, 16, v86
	v_and_b32_e32 v83, 0xffff0000, v86
	v_lshlrev_b32_e32 v84, 16, v87
	v_and_b32_e32 v85, 0xffff0000, v87
	;; [unrolled: 2-line block ×4, first 2 shown]
	v_cvt_pk_f16_f32 v82, v82, v83
	v_cvt_pk_f16_f32 v83, v84, v85
	;; [unrolled: 1-line block ×4, first 2 shown]
	v_pk_fma_f16 v69, v82, v76, v69
	v_pk_fma_f16 v70, v83, v76, v70
	;; [unrolled: 1-line block ×4, first 2 shown]
	s_waitcnt vmcnt(2)
	v_lshlrev_b32_e32 v72, 16, v94
	v_and_b32_e32 v83, 0xffff0000, v94
	v_lshlrev_b32_e32 v84, 16, v95
	v_and_b32_e32 v85, 0xffff0000, v95
	;; [unrolled: 2-line block ×4, first 2 shown]
	v_cvt_pk_f16_f32 v72, v72, v83
	v_cvt_pk_f16_f32 v83, v84, v85
	;; [unrolled: 1-line block ×4, first 2 shown]
	v_pk_fma_f16 v73, v72, v76, v73
	v_pk_fma_f16 v74, v83, v76, v74
	;; [unrolled: 1-line block ×4, first 2 shown]
	s_waitcnt vmcnt(1)
	v_lshlrev_b32_e32 v72, 16, v78
	v_and_b32_e32 v75, 0xffff0000, v78
	v_lshlrev_b32_e32 v78, 16, v79
	v_and_b32_e32 v79, 0xffff0000, v79
	;; [unrolled: 2-line block ×4, first 2 shown]
	s_waitcnt lgkmcnt(0)
	v_mul_u32_u24_e32 v76, 0x10001, v111
	v_cvt_pk_f16_f32 v72, v72, v75
	v_cvt_pk_f16_f32 v75, v78, v79
	;; [unrolled: 1-line block ×4, first 2 shown]
	v_pk_fma_f16 v69, v72, v76, v69
	v_pk_fma_f16 v72, v75, v76, v70
	;; [unrolled: 1-line block ×4, first 2 shown]
	s_waitcnt vmcnt(0)
	v_lshlrev_b32_e32 v75, 16, v90
	v_and_b32_e32 v78, 0xffff0000, v90
	v_lshlrev_b32_e32 v79, 16, v91
	v_and_b32_e32 v80, 0xffff0000, v91
	;; [unrolled: 2-line block ×4, first 2 shown]
	v_cvt_pk_f16_f32 v75, v75, v78
	v_cvt_pk_f16_f32 v78, v79, v80
	;; [unrolled: 1-line block ×4, first 2 shown]
	v_pk_fma_f16 v75, v75, v76, v73
	v_pk_fma_f16 v74, v78, v76, v74
	;; [unrolled: 1-line block ×4, first 2 shown]
	v_lshl_add_u64 v[42:43], v[42:43], 0, s[52:53]
	v_lshl_add_u64 v[46:47], v[46:47], 0, s[52:53]
	;; [unrolled: 1-line block ×3, first 2 shown]
	s_cbranch_scc1 .LBB14_22
; %bb.20:                               ;   in Loop: Header=BB14_11 Depth=1
	v_mov_b32_e32 v76, v77
	s_branch .LBB14_11
.LBB14_21:
	v_mov_b32_e32 v69, 0
	v_mov_b32_e32 v77, 0xfeffffff
	v_mov_b32_e32 v70, 0
	v_mov_b32_e32 v72, 0
	v_mov_b32_e32 v75, 0
	v_mov_b32_e32 v71, 0
	v_mov_b32_e32 v73, 0
	v_mov_b32_e32 v74, 0
	v_mov_b32_e32 v51, 0
.LBB14_22:
	s_cmp_lg_u64 s[24:25], 0
	v_or_b32_e32 v0, s3, v52
	s_cselect_b64 s[4:5], -1, 0
	v_cmp_eq_u32_e32 vcc, 0, v0
	s_and_b64 s[6:7], vcc, s[4:5]
	s_and_saveexec_b64 s[4:5], s[6:7]
	s_cbranch_execz .LBB14_24
; %bb.23:
	s_lshl_b64 s[6:7], s[40:41], 2
	s_add_u32 s6, s24, s6
	s_addc_u32 s7, s25, s7
	s_load_dword s6, s[6:7], 0x0
	v_max_f32_e32 v0, v77, v77
	s_mov_b32 s7, 0x3fb8aa3b
	s_mov_b32 s8, 0x42b17218
	s_waitcnt lgkmcnt(0)
	v_max_f32_e64 v1, s6, s6
	v_max_f32_e32 v0, v0, v1
	v_sub_f32_e32 v1, s6, v0
	v_mul_f32_e32 v2, 0x3fb8aa3b, v1
	v_fma_f32 v3, v1, s7, -v2
	v_rndne_f32_e32 v4, v2
	v_fmac_f32_e32 v3, 0x32a5705f, v1
	v_sub_f32_e32 v2, v2, v4
	v_add_f32_e32 v2, v2, v3
	v_cvt_i32_f32_e32 v3, v4
	v_exp_f32_e32 v2, v2
	s_mov_b32 s6, 0xc2ce8ed0
	v_cmp_ngt_f32_e32 vcc, s6, v1
	v_ldexp_f32 v2, v2, v3
	v_sub_f32_e32 v3, v77, v0
	v_mul_f32_e32 v4, 0x3fb8aa3b, v3
	v_fma_f32 v5, v3, s7, -v4
	v_rndne_f32_e32 v6, v4
	v_fmac_f32_e32 v5, 0x32a5705f, v3
	v_sub_f32_e32 v4, v4, v6
	v_add_f32_e32 v4, v4, v5
	v_exp_f32_e32 v4, v4
	v_cvt_i32_f32_e32 v5, v6
	v_cndmask_b32_e32 v2, 0, v2, vcc
	v_mov_b32_e32 v6, 0x7f800000
	v_cmp_nlt_f32_e32 vcc, s8, v1
	v_mov_b32_e32 v77, v0
	s_nop 0
	v_cndmask_b32_e32 v1, v6, v2, vcc
	v_ldexp_f32 v2, v4, v5
	v_cmp_ngt_f32_e32 vcc, s6, v3
	s_nop 1
	v_cndmask_b32_e32 v2, 0, v2, vcc
	v_cmp_nlt_f32_e32 vcc, s8, v3
	s_nop 1
	v_cndmask_b32_e32 v2, v6, v2, vcc
	v_cvt_f16_f32_e32 v3, v2
	v_cmp_eq_u32_e32 vcc, 0, v54
	s_nop 1
	v_cndmask_b32_e32 v1, 0, v1, vcc
	v_fmac_f32_e32 v1, v50, v2
	v_mul_u32_u24_e32 v2, 0x10001, v3
	v_pk_mul_f16 v69, v69, v2
	v_pk_mul_f16 v72, v72, v2
	;; [unrolled: 1-line block ×8, first 2 shown]
	v_mov_b32_e32 v50, v1
.LBB14_24:
	s_or_b64 exec, exec, s[4:5]
	s_and_saveexec_b64 s[4:5], s[14:15]
; %bb.25:
	v_mov_b32_e32 v0, 0xfeffffff
	v_mov_b32_e32 v1, 0
	v_add_u32_e32 v2, 0x1000, v58
	ds_write2_b32 v2, v0, v1 offset1:32
; %bb.26:
	s_or_b64 exec, exec, s[4:5]
	v_cmp_eq_u32_e32 vcc, 0, v54
	v_lshlrev_b32_e32 v6, 2, v52
	s_waitcnt lgkmcnt(0)
	s_barrier
	s_and_saveexec_b64 s[4:5], vcc
; %bb.27:
	ds_write_b32 v6, v77 offset:4096
; %bb.28:
	s_or_b64 exec, exec, s[4:5]
	v_mbcnt_hi_u32_b32 v0, -1, v55
	s_waitcnt lgkmcnt(0)
	s_barrier
	v_and_b32_e32 v1, 0x60, v0
	ds_read_b32 v3, v58 offset:4096
	v_add_u32_e32 v2, 32, v1
	v_xor_b32_e32 v1, 16, v0
	v_cmp_lt_i32_e64 s[4:5], v1, v2
	v_xor_b32_e32 v9, 1, v0
	s_nop 0
	v_cndmask_b32_e64 v1, v0, v1, s[4:5]
	v_lshlrev_b32_e32 v5, 2, v1
	s_waitcnt lgkmcnt(0)
	ds_bpermute_b32 v4, v5, v3
	v_xor_b32_e32 v1, 8, v0
	v_cmp_lt_i32_e64 s[4:5], v1, v2
	v_max_f32_e32 v3, v3, v3
	s_waitcnt lgkmcnt(0)
	v_max_f32_e32 v4, v4, v4
	v_cndmask_b32_e64 v1, v0, v1, s[4:5]
	v_lshlrev_b32_e32 v1, 2, v1
	v_max_f32_e32 v3, v3, v4
	ds_bpermute_b32 v7, v1, v3
	v_xor_b32_e32 v4, 4, v0
	v_cmp_lt_i32_e64 s[4:5], v4, v2
	s_waitcnt lgkmcnt(0)
	v_max_f32_e32 v7, v7, v7
	v_cndmask_b32_e64 v4, v0, v4, s[4:5]
	v_lshlrev_b32_e32 v4, 2, v4
	v_max_f32_e32 v7, v3, v7
	ds_bpermute_b32 v8, v4, v7
	v_xor_b32_e32 v3, 2, v0
	v_cmp_lt_i32_e64 s[4:5], v3, v2
	s_waitcnt lgkmcnt(0)
	v_max_f32_e32 v8, v8, v8
	v_cndmask_b32_e64 v3, v0, v3, s[4:5]
	v_lshlrev_b32_e32 v3, 2, v3
	v_max_f32_e32 v7, v7, v8
	ds_bpermute_b32 v8, v3, v7
	v_cmp_lt_i32_e64 s[4:5], v9, v2
	s_nop 1
	v_cndmask_b32_e64 v0, v0, v9, s[4:5]
	v_lshlrev_b32_e32 v2, 2, v0
	s_waitcnt lgkmcnt(0)
	v_max_f32_e32 v0, v8, v8
	v_max_f32_e32 v0, v7, v0
	ds_bpermute_b32 v7, v2, v0
	s_mov_b32 s4, 0x3fb8aa3b
	s_waitcnt lgkmcnt(0)
	v_max_f32_e32 v7, v7, v7
	v_max_f32_e32 v0, v0, v7
	v_sub_f32_e32 v7, v77, v0
	v_mul_f32_e32 v8, 0x3fb8aa3b, v7
	v_fma_f32 v9, v7, s4, -v8
	v_rndne_f32_e32 v10, v8
	v_fmamk_f32 v9, v7, 0x32a5705f, v9
	v_sub_f32_e32 v8, v8, v10
	v_add_f32_e32 v8, v8, v9
	v_exp_f32_e32 v8, v8
	v_cvt_i32_f32_e32 v9, v10
	s_mov_b32 s4, 0xc2ce8ed0
	v_cmp_ngt_f32_e64 s[4:5], s4, v7
	v_ldexp_f32 v8, v8, v9
	s_nop 0
	v_cndmask_b32_e64 v8, 0, v8, s[4:5]
	s_mov_b32 s4, 0x42b17218
	v_mov_b32_e32 v9, 0x7f800000
	v_cmp_nlt_f32_e64 s[4:5], s4, v7
	s_nop 1
	v_cndmask_b32_e64 v7, v9, v8, s[4:5]
	v_mul_f32_e32 v9, v50, v7
	ds_bpermute_b32 v9, v5, v9
	v_cvt_f16_f32_e32 v8, v7
	s_load_dword s4, s[0:1], 0xd4
	s_movk_i32 s0, 0x70
	s_waitcnt lgkmcnt(0)
	v_fmac_f32_e32 v9, v50, v7
	ds_bpermute_b32 v7, v1, v9
	v_mul_u32_u24_e32 v8, 0x10001, v8
	v_pk_mul_f16 v10, v69, v8
	v_pk_mul_f16 v11, v72, v8
	;; [unrolled: 1-line block ×3, first 2 shown]
	s_waitcnt lgkmcnt(0)
	v_add_f32_e32 v7, v9, v7
	ds_bpermute_b32 v9, v4, v7
	v_pk_mul_f16 v13, v71, v8
	v_pk_mul_f16 v14, v75, v8
	v_pk_mul_f16 v15, v74, v8
	v_pk_mul_f16 v16, v73, v8
	s_waitcnt lgkmcnt(0)
	v_add_f32_e32 v7, v7, v9
	ds_bpermute_b32 v9, v3, v7
	v_pk_mul_f16 v17, v51, v8
	v_lshlrev_b32_e32 v8, 5, v54
	v_and_b32_e32 v8, 0xf00, v8
	v_lshl_add_u32 v8, v52, 10, v8
	s_waitcnt lgkmcnt(0)
	v_add_f32_e32 v7, v7, v9
	v_and_or_b32 v18, v53, s0, v8
	ds_bpermute_b32 v8, v2, v7
	ds_write2_b32 v18, v11, v12 offset0:1 offset1:2
	ds_write2_b32 v18, v10, v13 offset1:3
	ds_write2_b32 v18, v15, v16 offset0:33 offset1:34
	ds_write2_b32 v18, v14, v17 offset0:32 offset1:35
	s_and_saveexec_b64 s[0:1], vcc
	s_cbranch_execz .LBB14_30
; %bb.29:
	s_waitcnt lgkmcnt(4)
	v_add_f32_e32 v7, v7, v8
	ds_write_b32 v6, v7 offset:4224
.LBB14_30:
	s_or_b64 exec, exec, s[0:1]
	s_waitcnt lgkmcnt(0)
	s_barrier
	ds_read_b32 v7, v58 offset:4224
	ds_read_u16 v6, v57
	ds_read_u16 v8, v57 offset:256
	ds_read_u16 v10, v57 offset:512
	;; [unrolled: 1-line block ×6, first 2 shown]
	s_waitcnt lgkmcnt(7)
	ds_bpermute_b32 v9, v5, v7
	s_waitcnt lgkmcnt(7)
	v_cvt_f32_f16_e32 v5, v6
	s_waitcnt lgkmcnt(6)
	v_cvt_f32_f16_e32 v6, v8
	;; [unrolled: 2-line block ×4, first 2 shown]
	v_add_f32_e32 v5, 0, v5
	v_add_f32_e32 v5, v5, v6
	s_waitcnt lgkmcnt(3)
	v_cvt_f32_f16_e32 v6, v12
	v_add_f32_e32 v5, v5, v8
	s_waitcnt lgkmcnt(2)
	v_cvt_f32_f16_e32 v8, v13
	;; [unrolled: 3-line block ×3, first 2 shown]
	ds_read_u16 v11, v57 offset:1792
	ds_read_u16 v12, v57 offset:2048
	;; [unrolled: 1-line block ×8, first 2 shown]
	s_waitcnt lgkmcnt(7)
	v_cvt_f32_f16_e32 v11, v11
	v_add_f32_e32 v5, v5, v6
	v_add_f32_e32 v5, v5, v8
	s_waitcnt lgkmcnt(6)
	v_cvt_f32_f16_e32 v6, v12
	v_add_f32_e32 v5, v5, v10
	s_waitcnt lgkmcnt(5)
	v_cvt_f32_f16_e32 v10, v13
	;; [unrolled: 3-line block ×3, first 2 shown]
	s_waitcnt lgkmcnt(3)
	v_cvt_f32_f16_e32 v8, v15
	v_add_f32_e32 v5, v5, v6
	v_add_f32_e32 v5, v5, v10
	;; [unrolled: 1-line block ×3, first 2 shown]
	v_pk_add_f32 v[6:7], v[6:7], v[8:9]
	ds_bpermute_b32 v9, v1, v7
	s_waitcnt lgkmcnt(3)
	v_cvt_f32_f16_e32 v8, v16
	ds_read_u16 v1, v57 offset:3840
	s_mul_i32 s0, s33, s34
	s_add_i32 s0, s0, s2
	s_waitcnt lgkmcnt(1)
	v_pk_add_f32 v[6:7], v[6:7], v[8:9]
	ds_bpermute_b32 v5, v4, v7
	v_cvt_f32_f16_e32 v4, v17
	s_mul_i32 s0, s0, s35
	s_add_i32 s0, s0, s40
	s_mul_i32 s0, s4, s0
	s_waitcnt lgkmcnt(0)
	v_pk_add_f32 v[4:5], v[6:7], v[4:5]
	ds_bpermute_b32 v7, v3, v5
	v_cvt_f32_f16_e32 v6, v18
	s_add_i32 s0, s0, s3
	v_mov_b32_e32 v10, s28
	v_mov_b32_e32 v11, s29
	s_waitcnt lgkmcnt(0)
	v_pk_add_f32 v[4:5], v[4:5], v[6:7]
	ds_bpermute_b32 v7, v2, v5
	v_cvt_f32_f16_e32 v6, v1
	v_lshl_or_b32 v2, s0, 7, v56
	v_mov_b32_e32 v3, 0
	s_cmp_eq_u32 s4, 1
	s_waitcnt lgkmcnt(0)
	v_pk_add_f32 v[4:5], v[4:5], v[6:7]
	v_lshl_add_u64 v[6:7], v[2:3], 2, v[10:11]
	v_div_scale_f32 v1, s[2:3], v5, v5, v4
	v_rcp_f32_e32 v8, v1
	s_nop 0
	v_fma_f32 v2, -v1, v8, 1.0
	v_fmac_f32_e32 v8, v2, v8
	v_div_scale_f32 v2, vcc, v4, v5, v4
	v_mul_f32_e32 v9, v2, v8
	v_fma_f32 v10, -v1, v9, v2
	v_fmac_f32_e32 v9, v10, v8
	v_fma_f32 v1, -v1, v9, v2
	v_div_fmas_f32 v1, v1, v8, v9
	v_div_fixup_f32 v1, v1, v5, v4
	s_cselect_b64 vcc, -1, 0
	s_cmp_lg_u32 s4, 1
	v_cndmask_b32_e32 v1, v4, v1, vcc
	s_cselect_b64 s[2:3], -1, 0
	v_cmp_eq_u32_e32 vcc, 0, v56
	s_and_b64 s[2:3], vcc, s[2:3]
	global_store_dword v[6:7], v1, off
	s_and_saveexec_b64 s[4:5], s[2:3]
	s_cbranch_execz .LBB14_32
; %bb.31:
	s_mov_b32 s1, 0
	s_lshl_b64 s[0:1], s[0:1], 3
	s_add_u32 s0, s30, s0
	s_addc_u32 s1, s31, s1
	v_mov_b32_e32 v1, v5
	global_store_dwordx2 v3, v[0:1], s[0:1]
.LBB14_32:
	s_endpgm
	.section	.rodata,"a",@progbits
	.p2align	6, 0x0
	.amdhsa_kernel _ZL18flash_attn_ext_vecILi128ELi1EL9ggml_type3ELS0_30ELb0EEvPKcS2_S2_S2_S2_PKiPfP15HIP_vector_typeIfLj2EEffffjfiS6_IjLj3EEiiiiiiiiiiiliiliiiiil
		.amdhsa_group_segment_fixed_size 4352
		.amdhsa_private_segment_fixed_size 0
		.amdhsa_kernarg_size 464
		.amdhsa_user_sgpr_count 2
		.amdhsa_user_sgpr_dispatch_ptr 0
		.amdhsa_user_sgpr_queue_ptr 0
		.amdhsa_user_sgpr_kernarg_segment_ptr 1
		.amdhsa_user_sgpr_dispatch_id 0
		.amdhsa_user_sgpr_kernarg_preload_length 0
		.amdhsa_user_sgpr_kernarg_preload_offset 0
		.amdhsa_user_sgpr_private_segment_size 0
		.amdhsa_uses_dynamic_stack 0
		.amdhsa_enable_private_segment 0
		.amdhsa_system_sgpr_workgroup_id_x 1
		.amdhsa_system_sgpr_workgroup_id_y 1
		.amdhsa_system_sgpr_workgroup_id_z 1
		.amdhsa_system_sgpr_workgroup_info 0
		.amdhsa_system_vgpr_workitem_id 1
		.amdhsa_next_free_vgpr 114
		.amdhsa_next_free_sgpr 67
		.amdhsa_accum_offset 116
		.amdhsa_reserve_vcc 1
		.amdhsa_float_round_mode_32 0
		.amdhsa_float_round_mode_16_64 0
		.amdhsa_float_denorm_mode_32 3
		.amdhsa_float_denorm_mode_16_64 3
		.amdhsa_dx10_clamp 1
		.amdhsa_ieee_mode 1
		.amdhsa_fp16_overflow 0
		.amdhsa_tg_split 0
		.amdhsa_exception_fp_ieee_invalid_op 0
		.amdhsa_exception_fp_denorm_src 0
		.amdhsa_exception_fp_ieee_div_zero 0
		.amdhsa_exception_fp_ieee_overflow 0
		.amdhsa_exception_fp_ieee_underflow 0
		.amdhsa_exception_fp_ieee_inexact 0
		.amdhsa_exception_int_div_zero 0
	.end_amdhsa_kernel
	.section	.text._ZL18flash_attn_ext_vecILi128ELi1EL9ggml_type3ELS0_30ELb0EEvPKcS2_S2_S2_S2_PKiPfP15HIP_vector_typeIfLj2EEffffjfiS6_IjLj3EEiiiiiiiiiiiliiliiiiil,"axG",@progbits,_ZL18flash_attn_ext_vecILi128ELi1EL9ggml_type3ELS0_30ELb0EEvPKcS2_S2_S2_S2_PKiPfP15HIP_vector_typeIfLj2EEffffjfiS6_IjLj3EEiiiiiiiiiiiliiliiiiil,comdat
.Lfunc_end14:
	.size	_ZL18flash_attn_ext_vecILi128ELi1EL9ggml_type3ELS0_30ELb0EEvPKcS2_S2_S2_S2_PKiPfP15HIP_vector_typeIfLj2EEffffjfiS6_IjLj3EEiiiiiiiiiiiliiliiiiil, .Lfunc_end14-_ZL18flash_attn_ext_vecILi128ELi1EL9ggml_type3ELS0_30ELb0EEvPKcS2_S2_S2_S2_PKiPfP15HIP_vector_typeIfLj2EEffffjfiS6_IjLj3EEiiiiiiiiiiiliiliiiiil
                                        ; -- End function
	.set _ZL18flash_attn_ext_vecILi128ELi1EL9ggml_type3ELS0_30ELb0EEvPKcS2_S2_S2_S2_PKiPfP15HIP_vector_typeIfLj2EEffffjfiS6_IjLj3EEiiiiiiiiiiiliiliiiiil.num_vgpr, 114
	.set _ZL18flash_attn_ext_vecILi128ELi1EL9ggml_type3ELS0_30ELb0EEvPKcS2_S2_S2_S2_PKiPfP15HIP_vector_typeIfLj2EEffffjfiS6_IjLj3EEiiiiiiiiiiiliiliiiiil.num_agpr, 0
	.set _ZL18flash_attn_ext_vecILi128ELi1EL9ggml_type3ELS0_30ELb0EEvPKcS2_S2_S2_S2_PKiPfP15HIP_vector_typeIfLj2EEffffjfiS6_IjLj3EEiiiiiiiiiiiliiliiiiil.numbered_sgpr, 67
	.set _ZL18flash_attn_ext_vecILi128ELi1EL9ggml_type3ELS0_30ELb0EEvPKcS2_S2_S2_S2_PKiPfP15HIP_vector_typeIfLj2EEffffjfiS6_IjLj3EEiiiiiiiiiiiliiliiiiil.num_named_barrier, 0
	.set _ZL18flash_attn_ext_vecILi128ELi1EL9ggml_type3ELS0_30ELb0EEvPKcS2_S2_S2_S2_PKiPfP15HIP_vector_typeIfLj2EEffffjfiS6_IjLj3EEiiiiiiiiiiiliiliiiiil.private_seg_size, 0
	.set _ZL18flash_attn_ext_vecILi128ELi1EL9ggml_type3ELS0_30ELb0EEvPKcS2_S2_S2_S2_PKiPfP15HIP_vector_typeIfLj2EEffffjfiS6_IjLj3EEiiiiiiiiiiiliiliiiiil.uses_vcc, 1
	.set _ZL18flash_attn_ext_vecILi128ELi1EL9ggml_type3ELS0_30ELb0EEvPKcS2_S2_S2_S2_PKiPfP15HIP_vector_typeIfLj2EEffffjfiS6_IjLj3EEiiiiiiiiiiiliiliiiiil.uses_flat_scratch, 0
	.set _ZL18flash_attn_ext_vecILi128ELi1EL9ggml_type3ELS0_30ELb0EEvPKcS2_S2_S2_S2_PKiPfP15HIP_vector_typeIfLj2EEffffjfiS6_IjLj3EEiiiiiiiiiiiliiliiiiil.has_dyn_sized_stack, 0
	.set _ZL18flash_attn_ext_vecILi128ELi1EL9ggml_type3ELS0_30ELb0EEvPKcS2_S2_S2_S2_PKiPfP15HIP_vector_typeIfLj2EEffffjfiS6_IjLj3EEiiiiiiiiiiiliiliiiiil.has_recursion, 0
	.set _ZL18flash_attn_ext_vecILi128ELi1EL9ggml_type3ELS0_30ELb0EEvPKcS2_S2_S2_S2_PKiPfP15HIP_vector_typeIfLj2EEffffjfiS6_IjLj3EEiiiiiiiiiiiliiliiiiil.has_indirect_call, 0
	.section	.AMDGPU.csdata,"",@progbits
; Kernel info:
; codeLenInByte = 10232
; TotalNumSgprs: 73
; NumVgprs: 114
; NumAgprs: 0
; TotalNumVgprs: 114
; ScratchSize: 0
; MemoryBound: 0
; FloatMode: 240
; IeeeMode: 1
; LDSByteSize: 4352 bytes/workgroup (compile time only)
; SGPRBlocks: 9
; VGPRBlocks: 14
; NumSGPRsForWavesPerEU: 73
; NumVGPRsForWavesPerEU: 114
; AccumOffset: 116
; Occupancy: 4
; WaveLimiterHint : 1
; COMPUTE_PGM_RSRC2:SCRATCH_EN: 0
; COMPUTE_PGM_RSRC2:USER_SGPR: 2
; COMPUTE_PGM_RSRC2:TRAP_HANDLER: 0
; COMPUTE_PGM_RSRC2:TGID_X_EN: 1
; COMPUTE_PGM_RSRC2:TGID_Y_EN: 1
; COMPUTE_PGM_RSRC2:TGID_Z_EN: 1
; COMPUTE_PGM_RSRC2:TIDIG_COMP_CNT: 1
; COMPUTE_PGM_RSRC3_GFX90A:ACCUM_OFFSET: 28
; COMPUTE_PGM_RSRC3_GFX90A:TG_SPLIT: 0
	.section	.text._ZL33flash_attn_stream_k_fixup_uniformILi128ELi1ELi1EEvPfPK15HIP_vector_typeIfLj2EEiiiiiiS1_IjLj3EES5_S5_,"axG",@progbits,_ZL33flash_attn_stream_k_fixup_uniformILi128ELi1ELi1EEvPfPK15HIP_vector_typeIfLj2EEiiiiiiS1_IjLj3EES5_S5_,comdat
	.globl	_ZL33flash_attn_stream_k_fixup_uniformILi128ELi1ELi1EEvPfPK15HIP_vector_typeIfLj2EEiiiiiiS1_IjLj3EES5_S5_ ; -- Begin function _ZL33flash_attn_stream_k_fixup_uniformILi128ELi1ELi1EEvPfPK15HIP_vector_typeIfLj2EEiiiiiiS1_IjLj3EES5_S5_
	.p2align	8
	.type	_ZL33flash_attn_stream_k_fixup_uniformILi128ELi1ELi1EEvPfPK15HIP_vector_typeIfLj2EEiiiiiiS1_IjLj3EES5_S5_,@function
_ZL33flash_attn_stream_k_fixup_uniformILi128ELi1ELi1EEvPfPK15HIP_vector_typeIfLj2EEiiiiiiS1_IjLj3EES5_S5_: ; @_ZL33flash_attn_stream_k_fixup_uniformILi128ELi1ELi1EEvPfPK15HIP_vector_typeIfLj2EEiiiiiiS1_IjLj3EES5_S5_
; %bb.0:
	s_load_dwordx8 s[8:15], s[0:1], 0x1c
	s_load_dwordx2 s[6:7], s[0:1], 0x10
	s_load_dwordx4 s[16:19], s[0:1], 0x3c
	s_waitcnt lgkmcnt(0)
	s_mul_hi_u32 s5, s11, s2
	s_add_i32 s5, s2, s5
	s_lshr_b32 s5, s5, s12
	s_mul_i32 s11, s5, s13
	s_sub_i32 s12, s2, s11
	s_mul_hi_u32 s11, s12, s14
	s_add_i32 s11, s12, s11
	s_lshr_b32 s11, s11, s15
	s_mul_i32 s13, s11, s16
	s_sub_i32 s12, s12, s13
	;; [unrolled: 5-line block ×3, first 2 shown]
	s_add_i32 s17, s17, s3
	s_cmp_lt_i32 s17, s6
	s_cselect_b64 s[12:13], -1, 0
	s_add_i32 s16, s16, s4
	s_cmp_lt_i32 s16, s9
	s_cselect_b64 s[14:15], -1, 0
	s_and_b64 s[12:13], s[12:13], s[14:15]
	s_andn2_b64 vcc, exec, s[12:13]
	s_cbranch_vccnz .LBB15_6
; %bb.1:
	s_load_dwordx4 s[12:15], s[0:1], 0x0
	s_mul_i32 s5, s5, s6
	s_mul_i32 s11, s11, s9
	s_add_i32 s0, s17, s5
	s_mul_i32 s0, s0, s7
	s_add_i32 s1, s16, s11
	s_add_i32 s1, s1, s0
	v_lshl_or_b32 v4, s1, 7, v0
	s_waitcnt lgkmcnt(0)
	v_mov_b32_e32 v2, s12
	v_mov_b32_e32 v3, s13
	v_ashrrev_i32_e32 v5, 31, v4
	v_lshl_add_u64 v[2:3], v[4:5], 2, v[2:3]
	global_load_dword v5, v[2:3], off
	s_add_i32 s6, s3, s4
	s_mul_i32 s4, s10, s2
	s_add_i32 s5, s4, s10
	s_add_i32 s7, s6, s5
	s_add_i32 s0, s7, -1
	s_ashr_i32 s1, s0, 31
	s_lshl_b64 s[0:1], s[0:1], 3
	s_add_u32 s0, s14, s0
	s_addc_u32 s1, s15, s1
	s_load_dword s9, s[0:1], 0x4
	s_add_i32 s2, s5, -2
	s_cmp_lt_i32 s2, s4
	s_cbranch_scc1 .LBB15_4
; %bb.2:
	s_load_dword s0, s[0:1], 0x0
	s_lshl_b32 s2, s8, 2
	s_ashr_i32 s3, s2, 31
	s_lshl_b64 s[2:3], s[2:3], 2
	s_add_u32 s2, s14, s2
	v_lshl_or_b32 v0, s7, 7, v0
	s_addc_u32 s3, s15, s3
	s_add_i32 s5, s5, -1
	s_add_i32 s6, s6, s8
	v_add_u32_e32 v0, 0xffffff00, v0
	s_waitcnt lgkmcnt(0)
	v_mov_b32_e32 v6, s0
	v_mov_b32_e32 v4, s9
	s_mov_b32 s7, 0x3fb8aa3b
	s_mov_b32 s8, 0xc2ce8ed0
	;; [unrolled: 1-line block ×3, first 2 shown]
	v_mov_b32_e32 v7, 0x7f800000
	s_mov_b32 s10, 0xc1a00000
.LBB15_3:                               ; =>This Inner Loop Header: Depth=1
	v_ashrrev_i32_e32 v1, 31, v0
	v_lshl_add_u64 v[8:9], v[0:1], 2, s[2:3]
	global_load_dword v9, v[8:9], off
	s_add_i32 s5, s5, -1
	s_add_i32 s0, s5, s6
	s_ashr_i32 s1, s0, 31
	s_lshl_b64 s[0:1], s[0:1], 3
	s_add_u32 s0, s14, s0
	s_addc_u32 s1, s15, s1
	s_load_dwordx2 s[0:1], s[0:1], 0x0
	v_max_f32_e32 v1, v6, v6
	v_add_u32_e32 v0, 0xffffff80, v0
	s_cmp_le_i32 s5, s4
	s_waitcnt lgkmcnt(0)
	v_max_f32_e64 v10, s0, s0
	v_max_f32_e32 v1, v1, v10
	v_sub_f32_e32 v11, s0, v1
	v_sub_f32_e32 v10, v6, v1
	v_mul_f32_e32 v12, 0x3fb8aa3b, v11
	v_mov_b32_e32 v6, v1
	v_mul_f32_e32 v1, 0x3fb8aa3b, v10
	v_fma_f32 v15, v11, s7, -v12
	v_rndne_f32_e32 v16, v12
	v_fma_f32 v13, v10, s7, -v1
	v_rndne_f32_e32 v14, v1
	v_fmac_f32_e32 v15, 0x32a5705f, v11
	v_sub_f32_e32 v12, v12, v16
	v_fmac_f32_e32 v13, 0x32a5705f, v10
	v_sub_f32_e32 v1, v1, v14
	v_add_f32_e32 v12, v12, v15
	v_cvt_i32_f32_e32 v16, v16
	v_add_f32_e32 v1, v1, v13
	v_exp_f32_e32 v12, v12
	v_cvt_i32_f32_e32 v14, v14
	v_exp_f32_e32 v1, v1
	v_cmp_ngt_f32_e32 vcc, s8, v11
	v_ldexp_f32 v12, v12, v16
	v_mov_b32_e32 v8, s1
	v_ldexp_f32 v1, v1, v14
	v_cmp_ngt_f32_e64 s[0:1], s8, v10
	v_cndmask_b32_e32 v12, 0, v12, vcc
	v_cmp_nlt_f32_e32 vcc, s9, v11
	v_cndmask_b32_e64 v1, 0, v1, s[0:1]
	v_cmp_nlt_f32_e64 s[0:1], s9, v10
	v_cndmask_b32_e32 v12, v7, v12, vcc
	v_cmp_le_f32_e32 vcc, s10, v11
	v_cndmask_b32_e64 v1, v7, v1, s[0:1]
	v_cmp_le_f32_e64 s[0:1], s10, v10
	v_cndmask_b32_e32 v12, 0, v12, vcc
	s_waitcnt vmcnt(0)
	v_pk_mul_f32 v[8:9], v[8:9], v[12:13] op_sel_hi:[1,0]
	v_cndmask_b32_e64 v10, 0, v1, s[0:1]
	v_pk_fma_f32 v[4:5], v[4:5], v[10:11], v[8:9] op_sel_hi:[1,0,1]
	s_cbranch_scc0 .LBB15_3
	s_branch .LBB15_5
.LBB15_4:
	s_waitcnt lgkmcnt(0)
	v_mov_b32_e32 v4, s9
.LBB15_5:
	s_waitcnt vmcnt(0)
	v_div_scale_f32 v0, s[0:1], v4, v4, v5
	v_rcp_f32_e32 v1, v0
	v_div_scale_f32 v6, vcc, v5, v4, v5
	v_fma_f32 v7, -v0, v1, 1.0
	v_fmac_f32_e32 v1, v7, v1
	v_mul_f32_e32 v7, v6, v1
	v_fma_f32 v8, -v0, v7, v6
	v_fmac_f32_e32 v7, v8, v1
	v_fma_f32 v0, -v0, v7, v6
	v_div_fmas_f32 v0, v0, v1, v7
	v_div_fixup_f32 v0, v0, v4, v5
	global_store_dword v[2:3], v0, off
.LBB15_6:
	s_endpgm
	.section	.rodata,"a",@progbits
	.p2align	6, 0x0
	.amdhsa_kernel _ZL33flash_attn_stream_k_fixup_uniformILi128ELi1ELi1EEvPfPK15HIP_vector_typeIfLj2EEiiiiiiS1_IjLj3EES5_S5_
		.amdhsa_group_segment_fixed_size 0
		.amdhsa_private_segment_fixed_size 0
		.amdhsa_kernarg_size 76
		.amdhsa_user_sgpr_count 2
		.amdhsa_user_sgpr_dispatch_ptr 0
		.amdhsa_user_sgpr_queue_ptr 0
		.amdhsa_user_sgpr_kernarg_segment_ptr 1
		.amdhsa_user_sgpr_dispatch_id 0
		.amdhsa_user_sgpr_kernarg_preload_length 0
		.amdhsa_user_sgpr_kernarg_preload_offset 0
		.amdhsa_user_sgpr_private_segment_size 0
		.amdhsa_uses_dynamic_stack 0
		.amdhsa_enable_private_segment 0
		.amdhsa_system_sgpr_workgroup_id_x 1
		.amdhsa_system_sgpr_workgroup_id_y 1
		.amdhsa_system_sgpr_workgroup_id_z 1
		.amdhsa_system_sgpr_workgroup_info 0
		.amdhsa_system_vgpr_workitem_id 0
		.amdhsa_next_free_vgpr 17
		.amdhsa_next_free_sgpr 20
		.amdhsa_accum_offset 20
		.amdhsa_reserve_vcc 1
		.amdhsa_float_round_mode_32 0
		.amdhsa_float_round_mode_16_64 0
		.amdhsa_float_denorm_mode_32 3
		.amdhsa_float_denorm_mode_16_64 3
		.amdhsa_dx10_clamp 1
		.amdhsa_ieee_mode 1
		.amdhsa_fp16_overflow 0
		.amdhsa_tg_split 0
		.amdhsa_exception_fp_ieee_invalid_op 0
		.amdhsa_exception_fp_denorm_src 0
		.amdhsa_exception_fp_ieee_div_zero 0
		.amdhsa_exception_fp_ieee_overflow 0
		.amdhsa_exception_fp_ieee_underflow 0
		.amdhsa_exception_fp_ieee_inexact 0
		.amdhsa_exception_int_div_zero 0
	.end_amdhsa_kernel
	.section	.text._ZL33flash_attn_stream_k_fixup_uniformILi128ELi1ELi1EEvPfPK15HIP_vector_typeIfLj2EEiiiiiiS1_IjLj3EES5_S5_,"axG",@progbits,_ZL33flash_attn_stream_k_fixup_uniformILi128ELi1ELi1EEvPfPK15HIP_vector_typeIfLj2EEiiiiiiS1_IjLj3EES5_S5_,comdat
.Lfunc_end15:
	.size	_ZL33flash_attn_stream_k_fixup_uniformILi128ELi1ELi1EEvPfPK15HIP_vector_typeIfLj2EEiiiiiiS1_IjLj3EES5_S5_, .Lfunc_end15-_ZL33flash_attn_stream_k_fixup_uniformILi128ELi1ELi1EEvPfPK15HIP_vector_typeIfLj2EEiiiiiiS1_IjLj3EES5_S5_
                                        ; -- End function
	.set _ZL33flash_attn_stream_k_fixup_uniformILi128ELi1ELi1EEvPfPK15HIP_vector_typeIfLj2EEiiiiiiS1_IjLj3EES5_S5_.num_vgpr, 17
	.set _ZL33flash_attn_stream_k_fixup_uniformILi128ELi1ELi1EEvPfPK15HIP_vector_typeIfLj2EEiiiiiiS1_IjLj3EES5_S5_.num_agpr, 0
	.set _ZL33flash_attn_stream_k_fixup_uniformILi128ELi1ELi1EEvPfPK15HIP_vector_typeIfLj2EEiiiiiiS1_IjLj3EES5_S5_.numbered_sgpr, 20
	.set _ZL33flash_attn_stream_k_fixup_uniformILi128ELi1ELi1EEvPfPK15HIP_vector_typeIfLj2EEiiiiiiS1_IjLj3EES5_S5_.num_named_barrier, 0
	.set _ZL33flash_attn_stream_k_fixup_uniformILi128ELi1ELi1EEvPfPK15HIP_vector_typeIfLj2EEiiiiiiS1_IjLj3EES5_S5_.private_seg_size, 0
	.set _ZL33flash_attn_stream_k_fixup_uniformILi128ELi1ELi1EEvPfPK15HIP_vector_typeIfLj2EEiiiiiiS1_IjLj3EES5_S5_.uses_vcc, 1
	.set _ZL33flash_attn_stream_k_fixup_uniformILi128ELi1ELi1EEvPfPK15HIP_vector_typeIfLj2EEiiiiiiS1_IjLj3EES5_S5_.uses_flat_scratch, 0
	.set _ZL33flash_attn_stream_k_fixup_uniformILi128ELi1ELi1EEvPfPK15HIP_vector_typeIfLj2EEiiiiiiS1_IjLj3EES5_S5_.has_dyn_sized_stack, 0
	.set _ZL33flash_attn_stream_k_fixup_uniformILi128ELi1ELi1EEvPfPK15HIP_vector_typeIfLj2EEiiiiiiS1_IjLj3EES5_S5_.has_recursion, 0
	.set _ZL33flash_attn_stream_k_fixup_uniformILi128ELi1ELi1EEvPfPK15HIP_vector_typeIfLj2EEiiiiiiS1_IjLj3EES5_S5_.has_indirect_call, 0
	.section	.AMDGPU.csdata,"",@progbits
; Kernel info:
; codeLenInByte = 756
; TotalNumSgprs: 26
; NumVgprs: 17
; NumAgprs: 0
; TotalNumVgprs: 17
; ScratchSize: 0
; MemoryBound: 0
; FloatMode: 240
; IeeeMode: 1
; LDSByteSize: 0 bytes/workgroup (compile time only)
; SGPRBlocks: 3
; VGPRBlocks: 2
; NumSGPRsForWavesPerEU: 26
; NumVGPRsForWavesPerEU: 17
; AccumOffset: 20
; Occupancy: 8
; WaveLimiterHint : 0
; COMPUTE_PGM_RSRC2:SCRATCH_EN: 0
; COMPUTE_PGM_RSRC2:USER_SGPR: 2
; COMPUTE_PGM_RSRC2:TRAP_HANDLER: 0
; COMPUTE_PGM_RSRC2:TGID_X_EN: 1
; COMPUTE_PGM_RSRC2:TGID_Y_EN: 1
; COMPUTE_PGM_RSRC2:TGID_Z_EN: 1
; COMPUTE_PGM_RSRC2:TIDIG_COMP_CNT: 0
; COMPUTE_PGM_RSRC3_GFX90A:ACCUM_OFFSET: 4
; COMPUTE_PGM_RSRC3_GFX90A:TG_SPLIT: 0
	.section	.text._ZL33flash_attn_stream_k_fixup_generalILi128ELi1ELi1EEvPfPK15HIP_vector_typeIfLj2EEiiiiS1_IjLj3EES5_S5_S5_,"axG",@progbits,_ZL33flash_attn_stream_k_fixup_generalILi128ELi1ELi1EEvPfPK15HIP_vector_typeIfLj2EEiiiiS1_IjLj3EES5_S5_S5_,comdat
	.globl	_ZL33flash_attn_stream_k_fixup_generalILi128ELi1ELi1EEvPfPK15HIP_vector_typeIfLj2EEiiiiS1_IjLj3EES5_S5_S5_ ; -- Begin function _ZL33flash_attn_stream_k_fixup_generalILi128ELi1ELi1EEvPfPK15HIP_vector_typeIfLj2EEiiiiS1_IjLj3EES5_S5_S5_
	.p2align	8
	.type	_ZL33flash_attn_stream_k_fixup_generalILi128ELi1ELi1EEvPfPK15HIP_vector_typeIfLj2EEiiiiS1_IjLj3EES5_S5_S5_,@function
_ZL33flash_attn_stream_k_fixup_generalILi128ELi1ELi1EEvPfPK15HIP_vector_typeIfLj2EEiiiiS1_IjLj3EES5_S5_S5_: ; @_ZL33flash_attn_stream_k_fixup_generalILi128ELi1ELi1EEvPfPK15HIP_vector_typeIfLj2EEiiiiS1_IjLj3EES5_S5_S5_
; %bb.0:
	s_load_dwordx4 s[8:11], s[0:1], 0x10
	s_load_dword s22, s[0:1], 0x50
	s_mov_b32 s12, 0
	s_waitcnt lgkmcnt(0)
	s_mul_hi_i32 s13, s11, s2
	s_cmp_lg_u64 s[12:13], 0
	s_mul_i32 s5, s11, s2
	s_cbranch_scc0 .LBB16_20
; %bb.1:
	s_add_u32 s6, s22, 0
	s_addc_u32 s7, 0, 0
	s_xor_b64 s[6:7], s[6:7], 0
	v_cvt_f32_u32_e32 v1, s6
	v_cvt_f32_u32_e32 v2, s7
	s_sub_u32 s12, 0, s6
	s_subb_u32 s18, 0, s7
	v_fmamk_f32 v1, v2, 0x4f800000, v1
	v_rcp_f32_e32 v1, v1
	s_nop 0
	v_mul_f32_e32 v1, 0x5f7ffffc, v1
	v_mul_f32_e32 v2, 0x2f800000, v1
	v_trunc_f32_e32 v2, v2
	v_fmamk_f32 v1, v2, 0xcf800000, v1
	v_cvt_u32_f32_e32 v2, v2
	v_cvt_u32_f32_e32 v1, v1
	v_readfirstlane_b32 s19, v2
	v_readfirstlane_b32 s14, v1
	s_mul_i32 s15, s12, s19
	s_mul_hi_u32 s21, s12, s14
	s_mul_i32 s20, s18, s14
	s_add_i32 s15, s21, s15
	s_add_i32 s15, s15, s20
	s_mul_i32 s23, s12, s14
	s_mul_i32 s21, s14, s15
	s_mul_hi_u32 s24, s14, s23
	s_mul_hi_u32 s20, s14, s15
	s_add_u32 s21, s24, s21
	s_addc_u32 s20, 0, s20
	s_mul_hi_u32 s25, s19, s23
	s_mul_i32 s23, s19, s23
	s_add_u32 s21, s21, s23
	s_mul_hi_u32 s24, s19, s15
	s_addc_u32 s20, s20, s25
	s_addc_u32 s21, s24, 0
	s_mul_i32 s15, s19, s15
	s_add_u32 s15, s20, s15
	s_addc_u32 s20, 0, s21
	s_add_u32 s21, s14, s15
	s_cselect_b64 s[14:15], -1, 0
	s_cmp_lg_u64 s[14:15], 0
	s_addc_u32 s19, s19, s20
	s_mul_i32 s14, s12, s19
	s_mul_hi_u32 s15, s12, s21
	s_add_i32 s14, s15, s14
	s_mul_i32 s18, s18, s21
	s_add_i32 s14, s14, s18
	s_mul_i32 s12, s12, s21
	s_mul_hi_u32 s18, s19, s12
	s_mul_i32 s20, s19, s12
	s_mul_i32 s24, s21, s14
	s_mul_hi_u32 s12, s21, s12
	s_mul_hi_u32 s23, s21, s14
	s_add_u32 s12, s12, s24
	s_addc_u32 s23, 0, s23
	s_add_u32 s12, s12, s20
	s_mul_hi_u32 s15, s19, s14
	s_addc_u32 s12, s23, s18
	s_addc_u32 s15, s15, 0
	s_mul_i32 s14, s19, s14
	s_add_u32 s12, s12, s14
	s_addc_u32 s18, 0, s15
	s_add_u32 s20, s21, s12
	s_cselect_b64 s[14:15], -1, 0
	s_cmp_lg_u64 s[14:15], 0
	s_addc_u32 s18, s19, s18
	s_ashr_i32 s14, s13, 31
	s_add_u32 s12, s5, s14
	s_mov_b32 s15, s14
	s_addc_u32 s13, s13, s14
	s_xor_b64 s[12:13], s[12:13], s[14:15]
	s_mul_i32 s21, s12, s18
	s_mul_hi_u32 s23, s12, s20
	s_mul_hi_u32 s19, s12, s18
	s_add_u32 s21, s23, s21
	s_addc_u32 s19, 0, s19
	s_mul_hi_u32 s24, s13, s20
	s_mul_i32 s20, s13, s20
	s_add_u32 s20, s21, s20
	s_mul_hi_u32 s23, s13, s18
	s_addc_u32 s19, s19, s24
	s_addc_u32 s20, s23, 0
	s_mul_i32 s18, s13, s18
	s_add_u32 s23, s19, s18
	s_addc_u32 s24, 0, s20
	s_mul_i32 s18, s6, s24
	s_mul_hi_u32 s19, s6, s23
	s_add_i32 s18, s19, s18
	s_mul_i32 s19, s7, s23
	s_add_i32 s25, s18, s19
	s_sub_i32 s20, s13, s25
	s_mul_i32 s18, s6, s23
	s_sub_u32 s12, s12, s18
	s_cselect_b64 s[18:19], -1, 0
	s_cmp_lg_u64 s[18:19], 0
	s_subb_u32 s26, s20, s7
	s_sub_u32 s27, s12, s6
	s_cselect_b64 s[20:21], -1, 0
	s_cmp_lg_u64 s[20:21], 0
	s_subb_u32 s20, s26, 0
	s_cmp_ge_u32 s20, s7
	s_cselect_b32 s21, -1, 0
	s_cmp_ge_u32 s27, s6
	s_cselect_b32 s26, -1, 0
	s_cmp_eq_u32 s20, s7
	s_cselect_b32 s20, s26, s21
	s_add_u32 s21, s23, 1
	s_addc_u32 s26, s24, 0
	s_add_u32 s27, s23, 2
	s_addc_u32 s28, s24, 0
	s_cmp_lg_u32 s20, 0
	s_cselect_b32 s20, s27, s21
	s_cselect_b32 s21, s28, s26
	s_cmp_lg_u64 s[18:19], 0
	s_subb_u32 s13, s13, s25
	s_cmp_ge_u32 s13, s7
	s_cselect_b32 s18, -1, 0
	s_cmp_ge_u32 s12, s6
	s_cselect_b32 s6, -1, 0
	s_cmp_eq_u32 s13, s7
	s_cselect_b32 s6, s6, s18
	s_cmp_lg_u32 s6, 0
	s_cselect_b32 s7, s21, s24
	s_cselect_b32 s6, s20, s23
	s_xor_b64 s[12:13], s[14:15], 0
	s_xor_b64 s[6:7], s[6:7], s[12:13]
	s_sub_u32 s6, s6, s12
	s_load_dwordx4 s[12:15], s[0:1], 0x44
	s_cbranch_execnz .LBB16_3
.LBB16_2:
	v_cvt_f32_u32_e32 v1, s22
	s_sub_i32 s6, 0, s22
	v_rcp_iflag_f32_e32 v1, v1
	s_nop 0
	v_mul_f32_e32 v1, 0x4f7ffffe, v1
	v_cvt_u32_f32_e32 v1, v1
	s_nop 0
	v_readfirstlane_b32 s7, v1
	s_mul_i32 s6, s6, s7
	s_mul_hi_u32 s6, s7, s6
	s_add_i32 s7, s7, s6
	s_mul_hi_u32 s6, s5, s7
	s_waitcnt lgkmcnt(0)
	s_mul_i32 s15, s6, s22
	s_sub_i32 s5, s5, s15
	s_add_i32 s7, s6, 1
	s_sub_i32 s15, s5, s22
	s_cmp_ge_u32 s5, s22
	s_cselect_b32 s6, s7, s6
	s_cselect_b32 s5, s15, s5
	s_add_i32 s7, s6, 1
	s_cmp_ge_u32 s5, s22
	s_cselect_b32 s6, s7, s6
.LBB16_3:
	s_add_i32 s5, s2, 1
	s_mul_hi_i32 s21, s11, s5
	s_mov_b32 s20, 0
	s_cmp_lg_u64 s[20:21], 0
	s_mul_i32 s5, s11, s5
	s_cbranch_scc0 .LBB16_21
; %bb.4:
	s_add_u32 s16, s22, 0
	s_addc_u32 s17, 0, 0
	s_xor_b64 s[18:19], s[16:17], 0
	v_cvt_f32_u32_e32 v1, s18
	v_cvt_f32_u32_e32 v2, s19
	s_sub_u32 s7, 0, s18
	s_waitcnt lgkmcnt(0)
	s_subb_u32 s15, 0, s19
	v_fmamk_f32 v1, v2, 0x4f800000, v1
	v_rcp_f32_e32 v1, v1
	s_nop 0
	v_mul_f32_e32 v1, 0x5f7ffffc, v1
	v_mul_f32_e32 v2, 0x2f800000, v1
	v_trunc_f32_e32 v2, v2
	v_fmamk_f32 v1, v2, 0xcf800000, v1
	v_cvt_u32_f32_e32 v2, v2
	v_cvt_u32_f32_e32 v1, v1
	v_readfirstlane_b32 s20, v2
	v_readfirstlane_b32 s23, v1
	s_mul_i32 s24, s7, s20
	s_mul_hi_u32 s26, s7, s23
	s_mul_i32 s25, s15, s23
	s_add_i32 s24, s26, s24
	s_add_i32 s24, s24, s25
	s_mul_i32 s27, s7, s23
	s_mul_i32 s26, s23, s24
	s_mul_hi_u32 s28, s23, s27
	s_mul_hi_u32 s25, s23, s24
	s_add_u32 s26, s28, s26
	s_addc_u32 s25, 0, s25
	s_mul_hi_u32 s29, s20, s27
	s_mul_i32 s27, s20, s27
	s_add_u32 s26, s26, s27
	s_mul_hi_u32 s28, s20, s24
	s_addc_u32 s25, s25, s29
	s_addc_u32 s26, s28, 0
	s_mul_i32 s24, s20, s24
	s_add_u32 s24, s25, s24
	s_addc_u32 s26, 0, s26
	s_add_u32 s23, s23, s24
	s_cselect_b64 s[24:25], -1, 0
	s_cmp_lg_u64 s[24:25], 0
	s_addc_u32 s20, s20, s26
	s_mul_i32 s24, s7, s20
	s_mul_hi_u32 s25, s7, s23
	s_add_i32 s24, s25, s24
	s_mul_i32 s15, s15, s23
	s_add_i32 s24, s24, s15
	s_mul_i32 s7, s7, s23
	s_mul_hi_u32 s25, s20, s7
	s_mul_i32 s26, s20, s7
	s_mul_i32 s28, s23, s24
	s_mul_hi_u32 s7, s23, s7
	s_mul_hi_u32 s27, s23, s24
	s_add_u32 s7, s7, s28
	s_addc_u32 s27, 0, s27
	s_add_u32 s7, s7, s26
	s_mul_hi_u32 s15, s20, s24
	s_addc_u32 s7, s27, s25
	s_addc_u32 s15, s15, 0
	s_mul_i32 s24, s20, s24
	s_add_u32 s7, s7, s24
	s_addc_u32 s15, 0, s15
	s_add_u32 s7, s23, s7
	s_cselect_b64 s[24:25], -1, 0
	s_cmp_lg_u64 s[24:25], 0
	s_addc_u32 s15, s20, s15
	s_ashr_i32 s24, s21, 31
	s_add_u32 s20, s5, s24
	s_mov_b32 s25, s24
	s_addc_u32 s21, s21, s24
	s_xor_b64 s[20:21], s[20:21], s[24:25]
	s_mul_i32 s26, s20, s15
	s_mul_hi_u32 s27, s20, s7
	s_mul_hi_u32 s23, s20, s15
	s_add_u32 s26, s27, s26
	s_addc_u32 s23, 0, s23
	s_mul_hi_u32 s28, s21, s7
	s_mul_i32 s7, s21, s7
	s_add_u32 s7, s26, s7
	s_mul_hi_u32 s27, s21, s15
	s_addc_u32 s7, s23, s28
	s_addc_u32 s23, s27, 0
	s_mul_i32 s15, s21, s15
	s_add_u32 s7, s7, s15
	s_addc_u32 s15, 0, s23
	s_mul_i32 s23, s18, s15
	s_mul_hi_u32 s26, s18, s7
	s_add_i32 s23, s26, s23
	s_mul_i32 s26, s19, s7
	s_add_i32 s23, s23, s26
	s_sub_i32 s28, s21, s23
	s_mul_i32 s26, s18, s7
	s_sub_u32 s20, s20, s26
	s_cselect_b64 s[26:27], -1, 0
	s_cmp_lg_u64 s[26:27], 0
	s_subb_u32 s30, s28, s19
	s_sub_u32 s31, s20, s18
	s_cselect_b64 s[28:29], -1, 0
	s_cmp_lg_u64 s[28:29], 0
	s_subb_u32 s28, s30, 0
	s_cmp_ge_u32 s28, s19
	s_cselect_b32 s29, -1, 0
	s_cmp_ge_u32 s31, s18
	s_cselect_b32 s30, -1, 0
	s_cmp_eq_u32 s28, s19
	s_cselect_b32 s28, s30, s29
	s_add_u32 s29, s7, 1
	s_addc_u32 s30, s15, 0
	s_add_u32 s31, s7, 2
	s_addc_u32 s33, s15, 0
	s_cmp_lg_u32 s28, 0
	s_cselect_b32 s28, s31, s29
	s_cselect_b32 s29, s33, s30
	s_cmp_lg_u64 s[26:27], 0
	s_subb_u32 s21, s21, s23
	s_cmp_ge_u32 s21, s19
	s_cselect_b32 s23, -1, 0
	s_cmp_ge_u32 s20, s18
	s_cselect_b32 s18, -1, 0
	s_cmp_eq_u32 s21, s19
	s_cselect_b32 s18, s18, s23
	s_cmp_lg_u32 s18, 0
	s_cselect_b32 s19, s29, s15
	s_cselect_b32 s18, s28, s7
	s_xor_b64 s[20:21], s[24:25], 0
	s_xor_b64 s[18:19], s[18:19], s[20:21]
	s_sub_u32 s18, s18, s20
	s_cbranch_execnz .LBB16_6
.LBB16_5:
	v_cvt_f32_u32_e32 v1, s22
	s_sub_i32 s7, 0, s22
	v_rcp_iflag_f32_e32 v1, v1
	s_nop 0
	v_mul_f32_e32 v1, 0x4f7ffffe, v1
	v_cvt_u32_f32_e32 v1, v1
	s_waitcnt lgkmcnt(0)
	v_readfirstlane_b32 s15, v1
	s_mul_i32 s7, s7, s15
	s_mul_hi_u32 s7, s15, s7
	s_add_i32 s15, s15, s7
	s_mul_hi_u32 s7, s5, s15
	s_mul_i32 s16, s7, s22
	s_sub_i32 s5, s5, s16
	s_add_i32 s15, s7, 1
	s_sub_i32 s16, s5, s22
	s_cmp_ge_u32 s5, s22
	s_cselect_b32 s7, s15, s7
	s_cselect_b32 s5, s16, s5
	s_add_i32 s15, s7, 1
	s_cmp_ge_u32 s5, s22
	s_cselect_b32 s18, s15, s7
.LBB16_6:
	s_cmp_eq_u32 s6, s18
	s_waitcnt lgkmcnt(0)
	s_mul_hi_u32 s5, s6, s12
	s_cselect_b64 s[16:17], -1, 0
	s_add_i32 s5, s5, s6
	s_lshr_b32 s7, s5, s13
	s_mul_i32 s5, s7, s14
	s_cmp_eq_u32 s5, s6
	s_mul_hi_u32 s5, s18, s12
	s_cselect_b64 s[20:21], -1, 0
	s_add_i32 s5, s5, s18
	s_lshr_b32 s5, s5, s13
	s_cmp_eq_u32 s7, s5
	s_mul_i32 s5, s5, s14
	s_cselect_b64 s[24:25], -1, 0
	s_cmp_lg_u32 s5, s18
	s_cselect_b64 s[18:19], -1, 0
	s_and_b64 s[18:19], s[24:25], s[18:19]
	s_or_b64 s[16:17], s[16:17], s[20:21]
	s_or_b64 s[16:17], s[16:17], s[18:19]
	s_and_b64 vcc, exec, s[16:17]
	s_cbranch_vccnz .LBB16_23
; %bb.7:
	s_load_dwordx8 s[24:31], s[0:1], 0x20
	s_load_dword s5, s[0:1], 0x40
	s_waitcnt lgkmcnt(0)
	s_mul_hi_u32 s15, s6, s24
	s_add_i32 s15, s15, s6
	s_lshr_b32 s20, s15, s25
	s_mul_i32 s15, s20, s26
	s_sub_i32 s15, s6, s15
	s_mul_hi_u32 s16, s15, s27
	s_add_i32 s16, s15, s16
	s_lshr_b32 s21, s16, s28
	s_mul_i32 s16, s21, s29
	s_sub_i32 s15, s15, s16
	;; [unrolled: 5-line block ×3, first 2 shown]
	s_mul_hi_u32 s15, s5, s12
	s_add_i32 s5, s5, s15
	s_lshr_b32 s23, s5, s13
	s_add_i32 s23, s23, s3
	s_cmp_lt_i32 s23, s8
	s_cselect_b64 s[16:17], -1, 0
	s_add_i32 s24, s24, s4
	s_cmp_lt_i32 s24, s10
	s_cselect_b64 s[18:19], -1, 0
	s_and_b64 s[16:17], s[16:17], s[18:19]
	s_andn2_b64 vcc, exec, s[16:17]
	s_cbranch_vccnz .LBB16_23
; %bb.8:
	s_load_dwordx4 s[16:19], s[0:1], 0x0
	s_mov_b32 s0, 0
	s_add_i32 s15, s3, s4
	s_lshl_b32 s4, s22, 2
	s_mov_b32 s5, s0
	s_lshl_b64 s[4:5], s[4:5], 2
	s_waitcnt lgkmcnt(0)
	s_add_u32 s4, s18, s4
	s_mul_i32 s20, s20, s8
	s_addc_u32 s5, s19, s5
	s_mul_i32 s21, s21, s10
	s_add_i32 s1, s23, s20
	s_mul_i32 s1, s1, s9
	s_add_i32 s3, s24, s21
	s_add_i32 s3, s3, s1
	v_lshl_or_b32 v4, s3, 7, v0
	v_mov_b32_e32 v2, s16
	v_mov_b32_e32 v3, s17
	v_ashrrev_i32_e32 v5, 31, v4
	v_lshl_add_u64 v[2:3], v[4:5], 2, v[2:3]
	global_load_dword v5, v[2:3], off
	v_cvt_f32_u32_e32 v1, s22
	s_add_i32 s8, s15, s2
	s_ashr_i32 s9, s8, 31
	s_lshl_b64 s[8:9], s[8:9], 3
	v_rcp_iflag_f32_e32 v1, v1
	s_add_u32 s8, s18, s8
	s_addc_u32 s9, s19, s9
	s_load_dwordx2 s[8:9], s[8:9], 0x0
	v_mul_f32_e32 v1, 0x4f7ffffe, v1
	v_cvt_u32_f32_e32 v1, v1
	s_add_i32 s24, s2, -1
	s_mov_b32 s10, 0x3fb8aa3b
	s_waitcnt lgkmcnt(0)
	v_mov_b32_e32 v4, s9
	v_mov_b32_e32 v9, s8
	s_mov_b32 s20, 0xc2ce8ed0
	s_mov_b32 s21, 0x42b17218
	;; [unrolled: 1-line block ×3, first 2 shown]
	v_mov_b32_e32 v8, 0x7f800000
	s_mul_hi_i32 s1, s24, s11
	s_cmp_lg_u64 s[0:1], 0
	s_mul_i32 s16, s24, s11
	s_cbranch_scc0 .LBB16_19
.LBB16_9:
	s_add_u32 s2, s22, 0
	s_addc_u32 s3, 0, 0
	s_xor_b64 s[2:3], s[2:3], 0
	v_cvt_f32_u32_e32 v6, s2
	v_cvt_f32_u32_e32 v7, s3
	s_sub_u32 s17, 0, s2
	s_subb_u32 s25, 0, s3
	v_fmac_f32_e32 v6, 0x4f800000, v7
	v_rcp_f32_e32 v6, v6
	s_nop 0
	v_mul_f32_e32 v6, 0x5f7ffffc, v6
	v_mul_f32_e32 v7, 0x2f800000, v6
	v_trunc_f32_e32 v7, v7
	v_fmac_f32_e32 v6, 0xcf800000, v7
	v_cvt_u32_f32_e32 v7, v7
	v_cvt_u32_f32_e32 v6, v6
	v_readfirstlane_b32 s26, v7
	v_readfirstlane_b32 s8, v6
	s_mul_i32 s9, s17, s26
	s_mul_hi_u32 s28, s17, s8
	s_mul_i32 s27, s25, s8
	s_add_i32 s9, s28, s9
	s_mul_i32 s29, s17, s8
	s_add_i32 s9, s9, s27
	s_mul_i32 s28, s8, s9
	s_mul_hi_u32 s30, s8, s29
	s_mul_hi_u32 s27, s8, s9
	s_add_u32 s28, s30, s28
	s_addc_u32 s27, 0, s27
	s_mul_hi_u32 s31, s26, s29
	s_mul_i32 s29, s26, s29
	s_add_u32 s28, s28, s29
	s_mul_hi_u32 s30, s26, s9
	s_addc_u32 s27, s27, s31
	s_addc_u32 s28, s30, 0
	s_mul_i32 s9, s26, s9
	s_add_u32 s9, s27, s9
	s_addc_u32 s27, 0, s28
	s_add_u32 s28, s8, s9
	s_cselect_b64 s[8:9], -1, 0
	s_cmp_lg_u64 s[8:9], 0
	s_addc_u32 s26, s26, s27
	s_mul_i32 s8, s17, s26
	s_mul_hi_u32 s9, s17, s28
	s_add_i32 s8, s9, s8
	s_mul_i32 s25, s25, s28
	s_add_i32 s8, s8, s25
	s_mul_i32 s17, s17, s28
	s_mul_hi_u32 s25, s26, s17
	s_mul_i32 s27, s26, s17
	s_mul_i32 s30, s28, s8
	s_mul_hi_u32 s17, s28, s17
	s_mul_hi_u32 s29, s28, s8
	s_add_u32 s17, s17, s30
	s_addc_u32 s29, 0, s29
	s_add_u32 s17, s17, s27
	s_mul_hi_u32 s9, s26, s8
	s_addc_u32 s17, s29, s25
	s_addc_u32 s9, s9, 0
	s_mul_i32 s8, s26, s8
	s_add_u32 s8, s17, s8
	s_addc_u32 s17, 0, s9
	s_add_u32 s25, s28, s8
	s_cselect_b64 s[8:9], -1, 0
	s_cmp_lg_u64 s[8:9], 0
	s_addc_u32 s17, s26, s17
	s_ashr_i32 s8, s1, 31
	s_add_u32 s26, s16, s8
	s_mov_b32 s9, s8
	s_addc_u32 s27, s1, s8
	s_xor_b64 s[26:27], s[26:27], s[8:9]
	s_mul_i32 s28, s26, s17
	s_mul_hi_u32 s29, s26, s25
	s_mul_hi_u32 s1, s26, s17
	s_add_u32 s28, s29, s28
	s_addc_u32 s1, 0, s1
	s_mul_hi_u32 s30, s27, s25
	s_mul_i32 s25, s27, s25
	s_add_u32 s25, s28, s25
	s_mul_hi_u32 s29, s27, s17
	s_addc_u32 s1, s1, s30
	s_addc_u32 s25, s29, 0
	s_mul_i32 s17, s27, s17
	s_add_u32 s1, s1, s17
	s_addc_u32 s17, 0, s25
	s_mul_i32 s25, s2, s17
	s_mul_hi_u32 s28, s2, s1
	s_add_i32 s25, s28, s25
	s_mul_i32 s28, s3, s1
	s_add_i32 s25, s25, s28
	s_sub_i32 s30, s27, s25
	s_mul_i32 s28, s2, s1
	s_sub_u32 s26, s26, s28
	s_cselect_b64 s[28:29], -1, 0
	s_cmp_lg_u64 s[28:29], 0
	s_subb_u32 s33, s30, s3
	s_sub_u32 s34, s26, s2
	s_cselect_b64 s[30:31], -1, 0
	s_cmp_lg_u64 s[30:31], 0
	s_subb_u32 s30, s33, 0
	s_cmp_ge_u32 s30, s3
	s_cselect_b32 s31, -1, 0
	s_cmp_ge_u32 s34, s2
	s_cselect_b32 s33, -1, 0
	s_cmp_eq_u32 s30, s3
	s_cselect_b32 s30, s33, s31
	s_add_u32 s31, s1, 1
	s_addc_u32 s33, s17, 0
	s_add_u32 s34, s1, 2
	s_addc_u32 s35, s17, 0
	s_cmp_lg_u32 s30, 0
	s_cselect_b32 s30, s34, s31
	s_cselect_b32 s31, s35, s33
	s_cmp_lg_u64 s[28:29], 0
	s_subb_u32 s25, s27, s25
	s_cmp_ge_u32 s25, s3
	s_cselect_b32 s27, -1, 0
	s_cmp_ge_u32 s26, s2
	s_cselect_b32 s2, -1, 0
	s_cmp_eq_u32 s25, s3
	s_cselect_b32 s2, s2, s27
	s_cmp_lg_u32 s2, 0
	s_cselect_b32 s3, s31, s17
	s_cselect_b32 s2, s30, s1
	s_xor_b64 s[8:9], s[8:9], 0
	s_xor_b64 s[2:3], s[2:3], s[8:9]
	s_sub_u32 s8, s2, s8
	s_cbranch_execnz .LBB16_11
.LBB16_10:
	s_sub_i32 s1, 0, s22
	v_readfirstlane_b32 s2, v1
	s_mul_i32 s1, s1, s2
	s_mul_hi_u32 s1, s2, s1
	s_add_i32 s2, s2, s1
	s_mul_hi_u32 s1, s16, s2
	s_mul_i32 s3, s1, s22
	s_sub_i32 s3, s16, s3
	s_add_i32 s2, s1, 1
	s_sub_i32 s8, s3, s22
	s_cmp_ge_u32 s3, s22
	s_cselect_b32 s1, s2, s1
	s_cselect_b32 s3, s8, s3
	s_add_i32 s2, s1, 1
	s_cmp_ge_u32 s3, s22
	s_cselect_b32 s8, s2, s1
.LBB16_11:
	s_cmp_lg_u32 s6, s8
	s_cbranch_scc0 .LBB16_15
; %bb.12:
	s_add_i32 s9, s24, s15
	s_add_i32 s2, s9, s22
	s_mov_b32 s3, s0
	s_lshl_b64 s[2:3], s[2:3], 3
	s_add_u32 s16, s18, s2
	s_mul_hi_u32 s1, s8, s12
	s_addc_u32 s17, s19, s3
	s_add_i32 s1, s1, s8
	s_lshr_b32 s1, s1, s13
	s_mul_i32 s2, s1, s14
	s_cmp_eq_u32 s2, s8
	s_cselect_b64 s[2:3], -1, 0
	s_cmp_lt_u32 s1, s7
	s_cselect_b64 s[26:27], -1, 0
	s_or_b64 s[26:27], s[26:27], s[2:3]
	s_mov_b64 s[2:3], -1
	s_and_b64 vcc, exec, s[26:27]
	s_mov_b32 s1, s24
	s_mov_b32 s25, s6
	s_cbranch_vccnz .LBB16_14
; %bb.13:
	s_add_i32 s1, s24, -1
	s_mov_b64 s[2:3], 0
	s_mov_b32 s25, s8
.LBB16_14:
	v_lshl_or_b32 v6, s9, 7, v0
	v_ashrrev_i32_e32 v7, 31, v6
	v_lshl_add_u64 v[6:7], v[6:7], 2, s[4:5]
	global_load_dword v7, v[6:7], off
	s_load_dwordx2 s[8:9], s[16:17], 0x0
	v_max_f32_e32 v6, v9, v9
	s_waitcnt lgkmcnt(0)
	v_max_f32_e64 v10, s8, s8
	v_max_f32_e32 v10, v6, v10
	v_sub_f32_e32 v11, v9, v10
	v_sub_f32_e32 v13, s8, v10
	v_mul_f32_e32 v6, 0x3fb8aa3b, v11
	v_mul_f32_e32 v12, 0x3fb8aa3b, v13
	v_fma_f32 v14, v11, s10, -v6
	v_rndne_f32_e32 v15, v6
	v_fma_f32 v16, v13, s10, -v12
	v_rndne_f32_e32 v17, v12
	v_fmac_f32_e32 v14, 0x32a5705f, v11
	v_sub_f32_e32 v6, v6, v15
	v_fmac_f32_e32 v16, 0x32a5705f, v13
	v_sub_f32_e32 v12, v12, v17
	v_add_f32_e32 v6, v6, v14
	v_cvt_i32_f32_e32 v15, v15
	v_add_f32_e32 v12, v12, v16
	v_exp_f32_e32 v14, v6
	v_cvt_i32_f32_e32 v17, v17
	v_exp_f32_e32 v12, v12
	v_cmp_ngt_f32_e32 vcc, s20, v11
	v_ldexp_f32 v14, v14, v15
	v_mov_b32_e32 v6, s9
	v_ldexp_f32 v12, v12, v17
	v_cndmask_b32_e32 v14, 0, v14, vcc
	v_cmp_ngt_f32_e32 vcc, s20, v13
	s_nop 1
	v_cndmask_b32_e32 v12, 0, v12, vcc
	v_cmp_nlt_f32_e32 vcc, s21, v11
	s_nop 1
	v_cndmask_b32_e32 v14, v8, v14, vcc
	v_cmp_nlt_f32_e32 vcc, s21, v13
	s_nop 1
	v_cndmask_b32_e32 v15, v8, v12, vcc
	v_cmp_le_f32_e32 vcc, s23, v11
	s_nop 1
	v_cndmask_b32_e32 v12, 0, v14, vcc
	v_cmp_le_f32_e32 vcc, s23, v13
	s_nop 1
	v_cndmask_b32_e32 v14, 0, v15, vcc
	s_waitcnt vmcnt(0)
	v_pk_mul_f32 v[6:7], v[6:7], v[14:15] op_sel_hi:[1,0]
	s_nop 0
	v_pk_fma_f32 v[6:7], v[4:5], v[12:13], v[6:7] op_sel_hi:[1,0,1]
	s_cbranch_execz .LBB16_16
	s_branch .LBB16_17
.LBB16_15:
                                        ; implicit-def: $vgpr6_vgpr7
                                        ; implicit-def: $sgpr2_sgpr3
                                        ; implicit-def: $vgpr10
                                        ; implicit-def: $sgpr1
                                        ; implicit-def: $sgpr25
.LBB16_16:
	s_add_i32 s1, s24, -1
	s_mov_b64 s[2:3], 0
	s_mov_b32 s25, s6
	v_mov_b32_e32 v10, v9
	s_waitcnt vmcnt(0)
	v_mov_b64_e32 v[6:7], v[4:5]
.LBB16_17:
	s_andn2_b64 vcc, exec, s[2:3]
	s_cbranch_vccz .LBB16_22
; %bb.18:
	s_mov_b32 s6, s25
	s_mov_b32 s24, s1
	v_mov_b32_e32 v9, v10
	s_waitcnt vmcnt(0)
	v_mov_b64_e32 v[4:5], v[6:7]
	s_mul_hi_i32 s1, s24, s11
	s_cmp_lg_u64 s[0:1], 0
	s_mul_i32 s16, s24, s11
	s_cbranch_scc1 .LBB16_9
.LBB16_19:
                                        ; implicit-def: $sgpr8_sgpr9
	s_branch .LBB16_10
.LBB16_20:
                                        ; implicit-def: $sgpr6_sgpr7
	s_load_dwordx4 s[12:15], s[0:1], 0x44
	s_branch .LBB16_2
.LBB16_21:
                                        ; implicit-def: $sgpr18_sgpr19
	s_branch .LBB16_5
.LBB16_22:
	v_div_scale_f32 v0, s[0:1], v6, v6, v7
	v_rcp_f32_e32 v1, v0
	v_div_scale_f32 v4, vcc, v7, v6, v7
	s_waitcnt vmcnt(0)
	v_fma_f32 v5, -v0, v1, 1.0
	v_fmac_f32_e32 v1, v5, v1
	v_mul_f32_e32 v5, v4, v1
	v_fma_f32 v8, -v0, v5, v4
	v_fmac_f32_e32 v5, v8, v1
	v_fma_f32 v0, -v0, v5, v4
	v_div_fmas_f32 v0, v0, v1, v5
	v_div_fixup_f32 v0, v0, v6, v7
	global_store_dword v[2:3], v0, off
.LBB16_23:
	s_endpgm
	.section	.rodata,"a",@progbits
	.p2align	6, 0x0
	.amdhsa_kernel _ZL33flash_attn_stream_k_fixup_generalILi128ELi1ELi1EEvPfPK15HIP_vector_typeIfLj2EEiiiiS1_IjLj3EES5_S5_S5_
		.amdhsa_group_segment_fixed_size 0
		.amdhsa_private_segment_fixed_size 0
		.amdhsa_kernarg_size 336
		.amdhsa_user_sgpr_count 2
		.amdhsa_user_sgpr_dispatch_ptr 0
		.amdhsa_user_sgpr_queue_ptr 0
		.amdhsa_user_sgpr_kernarg_segment_ptr 1
		.amdhsa_user_sgpr_dispatch_id 0
		.amdhsa_user_sgpr_kernarg_preload_length 0
		.amdhsa_user_sgpr_kernarg_preload_offset 0
		.amdhsa_user_sgpr_private_segment_size 0
		.amdhsa_uses_dynamic_stack 0
		.amdhsa_enable_private_segment 0
		.amdhsa_system_sgpr_workgroup_id_x 1
		.amdhsa_system_sgpr_workgroup_id_y 1
		.amdhsa_system_sgpr_workgroup_id_z 1
		.amdhsa_system_sgpr_workgroup_info 0
		.amdhsa_system_vgpr_workitem_id 0
		.amdhsa_next_free_vgpr 18
		.amdhsa_next_free_sgpr 36
		.amdhsa_accum_offset 20
		.amdhsa_reserve_vcc 1
		.amdhsa_float_round_mode_32 0
		.amdhsa_float_round_mode_16_64 0
		.amdhsa_float_denorm_mode_32 3
		.amdhsa_float_denorm_mode_16_64 3
		.amdhsa_dx10_clamp 1
		.amdhsa_ieee_mode 1
		.amdhsa_fp16_overflow 0
		.amdhsa_tg_split 0
		.amdhsa_exception_fp_ieee_invalid_op 0
		.amdhsa_exception_fp_denorm_src 0
		.amdhsa_exception_fp_ieee_div_zero 0
		.amdhsa_exception_fp_ieee_overflow 0
		.amdhsa_exception_fp_ieee_underflow 0
		.amdhsa_exception_fp_ieee_inexact 0
		.amdhsa_exception_int_div_zero 0
	.end_amdhsa_kernel
	.section	.text._ZL33flash_attn_stream_k_fixup_generalILi128ELi1ELi1EEvPfPK15HIP_vector_typeIfLj2EEiiiiS1_IjLj3EES5_S5_S5_,"axG",@progbits,_ZL33flash_attn_stream_k_fixup_generalILi128ELi1ELi1EEvPfPK15HIP_vector_typeIfLj2EEiiiiS1_IjLj3EES5_S5_S5_,comdat
.Lfunc_end16:
	.size	_ZL33flash_attn_stream_k_fixup_generalILi128ELi1ELi1EEvPfPK15HIP_vector_typeIfLj2EEiiiiS1_IjLj3EES5_S5_S5_, .Lfunc_end16-_ZL33flash_attn_stream_k_fixup_generalILi128ELi1ELi1EEvPfPK15HIP_vector_typeIfLj2EEiiiiS1_IjLj3EES5_S5_S5_
                                        ; -- End function
	.set _ZL33flash_attn_stream_k_fixup_generalILi128ELi1ELi1EEvPfPK15HIP_vector_typeIfLj2EEiiiiS1_IjLj3EES5_S5_S5_.num_vgpr, 18
	.set _ZL33flash_attn_stream_k_fixup_generalILi128ELi1ELi1EEvPfPK15HIP_vector_typeIfLj2EEiiiiS1_IjLj3EES5_S5_S5_.num_agpr, 0
	.set _ZL33flash_attn_stream_k_fixup_generalILi128ELi1ELi1EEvPfPK15HIP_vector_typeIfLj2EEiiiiS1_IjLj3EES5_S5_S5_.numbered_sgpr, 36
	.set _ZL33flash_attn_stream_k_fixup_generalILi128ELi1ELi1EEvPfPK15HIP_vector_typeIfLj2EEiiiiS1_IjLj3EES5_S5_S5_.num_named_barrier, 0
	.set _ZL33flash_attn_stream_k_fixup_generalILi128ELi1ELi1EEvPfPK15HIP_vector_typeIfLj2EEiiiiS1_IjLj3EES5_S5_S5_.private_seg_size, 0
	.set _ZL33flash_attn_stream_k_fixup_generalILi128ELi1ELi1EEvPfPK15HIP_vector_typeIfLj2EEiiiiS1_IjLj3EES5_S5_S5_.uses_vcc, 1
	.set _ZL33flash_attn_stream_k_fixup_generalILi128ELi1ELi1EEvPfPK15HIP_vector_typeIfLj2EEiiiiS1_IjLj3EES5_S5_S5_.uses_flat_scratch, 0
	.set _ZL33flash_attn_stream_k_fixup_generalILi128ELi1ELi1EEvPfPK15HIP_vector_typeIfLj2EEiiiiS1_IjLj3EES5_S5_S5_.has_dyn_sized_stack, 0
	.set _ZL33flash_attn_stream_k_fixup_generalILi128ELi1ELi1EEvPfPK15HIP_vector_typeIfLj2EEiiiiS1_IjLj3EES5_S5_S5_.has_recursion, 0
	.set _ZL33flash_attn_stream_k_fixup_generalILi128ELi1ELi1EEvPfPK15HIP_vector_typeIfLj2EEiiiiS1_IjLj3EES5_S5_S5_.has_indirect_call, 0
	.section	.AMDGPU.csdata,"",@progbits
; Kernel info:
; codeLenInByte = 2896
; TotalNumSgprs: 42
; NumVgprs: 18
; NumAgprs: 0
; TotalNumVgprs: 18
; ScratchSize: 0
; MemoryBound: 0
; FloatMode: 240
; IeeeMode: 1
; LDSByteSize: 0 bytes/workgroup (compile time only)
; SGPRBlocks: 5
; VGPRBlocks: 2
; NumSGPRsForWavesPerEU: 42
; NumVGPRsForWavesPerEU: 18
; AccumOffset: 20
; Occupancy: 8
; WaveLimiterHint : 0
; COMPUTE_PGM_RSRC2:SCRATCH_EN: 0
; COMPUTE_PGM_RSRC2:USER_SGPR: 2
; COMPUTE_PGM_RSRC2:TRAP_HANDLER: 0
; COMPUTE_PGM_RSRC2:TGID_X_EN: 1
; COMPUTE_PGM_RSRC2:TGID_Y_EN: 1
; COMPUTE_PGM_RSRC2:TGID_Z_EN: 1
; COMPUTE_PGM_RSRC2:TIDIG_COMP_CNT: 0
; COMPUTE_PGM_RSRC3_GFX90A:ACCUM_OFFSET: 4
; COMPUTE_PGM_RSRC3_GFX90A:TG_SPLIT: 0
	.section	.text._ZL26flash_attn_combine_resultsILi128EEvPKfPK15HIP_vector_typeIfLj2EEPfi,"axG",@progbits,_ZL26flash_attn_combine_resultsILi128EEvPKfPK15HIP_vector_typeIfLj2EEPfi,comdat
	.globl	_ZL26flash_attn_combine_resultsILi128EEvPKfPK15HIP_vector_typeIfLj2EEPfi ; -- Begin function _ZL26flash_attn_combine_resultsILi128EEvPKfPK15HIP_vector_typeIfLj2EEPfi
	.p2align	8
	.type	_ZL26flash_attn_combine_resultsILi128EEvPKfPK15HIP_vector_typeIfLj2EEPfi,@function
_ZL26flash_attn_combine_resultsILi128EEvPKfPK15HIP_vector_typeIfLj2EEPfi: ; @_ZL26flash_attn_combine_resultsILi128EEvPKfPK15HIP_vector_typeIfLj2EEPfi
; %bb.0:
	s_load_dwordx2 s[6:7], s[0:1], 0x20
	s_load_dword s19, s[0:1], 0x18
	s_load_dwordx4 s[8:11], s[0:1], 0x0
	s_load_dwordx2 s[14:15], s[0:1], 0x10
	s_waitcnt lgkmcnt(0)
	s_mul_i32 s0, s6, s4
	s_add_i32 s0, s0, s2
	s_mul_i32 s18, s0, s7
	s_add_i32 s18, s18, s3
	s_lshl_b32 s20, s19, 1
	s_mul_i32 s2, s18, s19
	v_cmp_gt_i32_e32 vcc, s20, v0
	s_and_saveexec_b64 s[0:1], vcc
	s_cbranch_execz .LBB17_13
; %bb.1:
	v_xad_u32 v1, v0, -1, s20
	s_movk_i32 s4, 0x7f
	s_ashr_i32 s3, s2, 31
	v_cmp_lt_u32_e32 vcc, s4, v1
	s_mov_b64 s[6:7], -1
	v_mov_b32_e32 v2, v0
	s_and_saveexec_b64 s[4:5], vcc
	s_cbranch_execz .LBB17_10
; %bb.2:
	v_lshrrev_b32_e32 v6, 7, v1
	s_lshl_b64 s[6:7], s[2:3], 3
	v_add_u32_e32 v2, -1, v6
	s_add_u32 s6, s10, s6
	v_or_b32_e32 v1, 0x80, v0
	v_lshrrev_b32_e32 v3, 1, v2
	s_addc_u32 s7, s11, s7
	s_mov_b32 s21, 0
	v_add_u32_e32 v7, 1, v3
	v_cmp_lt_u32_e32 vcc, 13, v2
	v_mov_b32_e32 v4, 0
	v_mov_b64_e32 v[2:3], v[0:1]
	s_and_saveexec_b64 s[12:13], vcc
	s_cbranch_execz .LBB17_6
; %bb.3:
	v_and_b32_e32 v8, -8, v7
	v_lshl_add_u32 v9, v0, 2, 0
	s_mov_b64 s[16:17], 0
	v_mov_b32_e32 v5, 0
	v_mov_b64_e32 v[2:3], v[0:1]
.LBB17_4:                               ; =>This Inner Loop Header: Depth=1
	v_mov_b32_e32 v4, v2
	v_lshl_add_u64 v[24:25], v[4:5], 2, s[6:7]
	v_mov_b32_e32 v4, v3
	v_add_u32_e32 v10, 0x100, v3
	v_mov_b32_e32 v11, v5
	v_lshl_add_u64 v[26:27], v[4:5], 2, s[6:7]
	v_add_u32_e32 v4, 0x100, v2
	v_lshl_add_u64 v[10:11], v[10:11], 2, s[6:7]
	global_load_dword v1, v[24:25], off
	v_lshl_add_u64 v[24:25], v[4:5], 2, s[6:7]
	v_add_u32_e32 v4, 0x200, v2
	global_load_dword v28, v[26:27], off
	global_load_dword v29, v[24:25], off
	;; [unrolled: 1-line block ×3, first 2 shown]
	v_lshl_add_u64 v[10:11], v[4:5], 2, s[6:7]
	v_add_u32_e32 v4, 0x300, v2
	v_add_u32_e32 v12, 0x200, v3
	v_mov_b32_e32 v13, v5
	v_add_u32_e32 v14, 0x300, v3
	v_mov_b32_e32 v15, v5
	v_lshl_add_u64 v[24:25], v[4:5], 2, s[6:7]
	v_add_u32_e32 v4, 0x400, v2
	v_lshl_add_u64 v[12:13], v[12:13], 2, s[6:7]
	v_lshl_add_u64 v[14:15], v[14:15], 2, s[6:7]
	global_load_dword v26, v[10:11], off
	global_load_dword v27, v[12:13], off
	;; [unrolled: 1-line block ×4, first 2 shown]
	v_lshl_add_u64 v[10:11], v[4:5], 2, s[6:7]
	v_add_u32_e32 v4, 0x500, v2
	v_add_u32_e32 v16, 0x400, v3
	v_mov_b32_e32 v17, v5
	v_add_u32_e32 v18, 0x500, v3
	v_mov_b32_e32 v19, v5
	v_lshl_add_u64 v[12:13], v[4:5], 2, s[6:7]
	v_add_u32_e32 v4, 0x600, v2
	v_add_u32_e32 v20, 0x600, v3
	v_mov_b32_e32 v21, v5
	v_add_u32_e32 v22, 0x700, v3
	v_mov_b32_e32 v23, v5
	v_lshl_add_u64 v[16:17], v[16:17], 2, s[6:7]
	v_lshl_add_u64 v[18:19], v[18:19], 2, s[6:7]
	global_load_dword v14, v[10:11], off
	global_load_dword v15, v[16:17], off
	;; [unrolled: 1-line block ×4, first 2 shown]
	v_lshl_add_u64 v[10:11], v[4:5], 2, s[6:7]
	v_add_u32_e32 v4, 0x700, v2
	v_lshl_add_u64 v[20:21], v[20:21], 2, s[6:7]
	v_lshl_add_u64 v[22:23], v[22:23], 2, s[6:7]
	;; [unrolled: 1-line block ×3, first 2 shown]
	global_load_dword v16, v[10:11], off
	global_load_dword v17, v[20:21], off
	;; [unrolled: 1-line block ×4, first 2 shown]
	v_add_u32_e32 v8, -8, v8
	s_add_i32 s21, s21, 16
	v_cmp_eq_u32_e32 vcc, 0, v8
	v_add_u32_e32 v3, 0x800, v3
	v_mov_b32_e32 v4, s21
	s_or_b64 s[16:17], vcc, s[16:17]
	v_add_u32_e32 v2, 0x800, v2
	s_waitcnt vmcnt(14)
	ds_write2st64_b32 v9, v1, v28 offset1:2
	s_waitcnt vmcnt(12)
	ds_write2st64_b32 v9, v29, v30 offset0:4 offset1:6
	s_waitcnt vmcnt(10)
	ds_write2st64_b32 v9, v26, v27 offset0:8 offset1:10
	;; [unrolled: 2-line block ×7, first 2 shown]
	v_add_u32_e32 v9, 0x2000, v9
	s_andn2_b64 exec, exec, s[16:17]
	s_cbranch_execnz .LBB17_4
; %bb.5:
	s_or_b64 exec, exec, s[16:17]
.LBB17_6:
	s_or_b64 exec, exec, s[12:13]
	v_and_b32_e32 v1, 7, v7
	v_cmp_ne_u32_e32 vcc, 0, v1
	s_and_saveexec_b64 s[12:13], vcc
	s_cbranch_execz .LBB17_9
; %bb.7:
	v_lshlrev_b32_e32 v5, 2, v0
	v_lshl_or_b32 v4, v4, 9, v5
	v_add_u32_e32 v7, 0, v4
	s_mov_b64 s[16:17], 0
	v_mov_b32_e32 v5, 0
.LBB17_8:                               ; =>This Inner Loop Header: Depth=1
	v_mov_b32_e32 v4, v2
	v_lshl_add_u64 v[8:9], v[4:5], 2, s[6:7]
	v_mov_b32_e32 v4, v3
	v_lshl_add_u64 v[10:11], v[4:5], 2, s[6:7]
	global_load_dword v4, v[8:9], off
	global_load_dword v12, v[10:11], off
	v_add_u32_e32 v1, -1, v1
	v_cmp_eq_u32_e32 vcc, 0, v1
	v_add_u32_e32 v2, 0x100, v2
	v_add_u32_e32 v3, 0x100, v3
	s_or_b64 s[16:17], vcc, s[16:17]
	s_waitcnt vmcnt(0)
	ds_write2st64_b32 v7, v4, v12 offset1:2
	v_add_u32_e32 v7, 0x400, v7
	s_andn2_b64 exec, exec, s[16:17]
	s_cbranch_execnz .LBB17_8
.LBB17_9:
	s_or_b64 exec, exec, s[12:13]
	v_add_u32_e32 v1, 1, v6
	v_and_b32_e32 v3, 0x3fffffe, v1
	v_cmp_ne_u32_e32 vcc, v1, v3
	v_lshl_or_b32 v2, v3, 7, v0
	s_orn2_b64 s[6:7], vcc, exec
.LBB17_10:
	s_or_b64 exec, exec, s[4:5]
	s_and_b64 exec, exec, s[6:7]
	s_cbranch_execz .LBB17_13
; %bb.11:
	s_lshl_b64 s[4:5], s[2:3], 3
	s_add_u32 s4, s10, s4
	v_mov_b32_e32 v3, 0
	s_addc_u32 s5, s11, s5
	v_lshl_add_u64 v[4:5], v[2:3], 2, s[4:5]
	v_lshl_add_u32 v1, v2, 2, 0
	s_mov_b64 s[4:5], 0
	s_mov_b64 s[6:7], 0x200
.LBB17_12:                              ; =>This Inner Loop Header: Depth=1
	global_load_dword v3, v[4:5], off
	v_add_u32_e32 v2, 0x80, v2
	v_cmp_le_i32_e32 vcc, s20, v2
	v_lshl_add_u64 v[4:5], v[4:5], 0, s[6:7]
	s_or_b64 s[4:5], vcc, s[4:5]
	s_waitcnt vmcnt(0)
	ds_write_b32 v1, v3
	v_add_u32_e32 v1, 0x200, v1
	s_andn2_b64 exec, exec, s[4:5]
	s_cbranch_execnz .LBB17_12
.LBB17_13:
	s_or_b64 exec, exec, s[0:1]
	v_mov_b32_e32 v1, 0
	s_waitcnt lgkmcnt(0)
	s_barrier
	ds_read_b32 v1, v1
	s_cmp_lt_i32 s19, 2
	s_cbranch_scc1 .LBB17_21
; %bb.14:
	s_cmp_eq_u32 s19, 2
	s_cbranch_scc1 .LBB17_18
; %bb.15:
	s_add_i32 s3, s19, -1
	s_and_b32 s4, s3, -2
	s_add_i32 s6, 0, 8
	s_mov_b32 s5, 2
	s_waitcnt lgkmcnt(0)
	v_mov_b32_e32 v4, v1
.LBB17_16:                              ; =>This Inner Loop Header: Depth=1
	v_mov_b32_e32 v2, v1
	v_mov_b32_e32 v1, s6
	;; [unrolled: 1-line block ×3, first 2 shown]
	ds_read2_b32 v[4:5], v1 offset1:2
	s_cmp_lg_u32 s4, s5
	s_cselect_b64 s[10:11], -1, 0
	v_max_f32_e32 v1, v3, v3
	v_max_f32_e32 v6, v2, v2
	s_waitcnt lgkmcnt(0)
	v_cmp_u_f32_e32 vcc, v5, v5
	v_max_f32_e32 v7, v5, v5
	v_max_f32_e32 v8, v4, v4
	v_cndmask_b32_e64 v5, 0, 1, vcc
	v_cmp_u_f32_e32 vcc, v4, v4
	v_readfirstlane_b32 s0, v5
	s_lshl_b32 s0, s0, 1
	v_cndmask_b32_e64 v9, 0, 1, vcc
	v_max_f32_e32 v4, v1, v7
	v_readfirstlane_b32 s1, v9
	s_or_b32 s0, s1, s0
	s_and_b32 s7, s0, 3
	s_cmp_lg_u32 s7, 0
	s_cselect_b64 s[0:1], -1, 0
	s_cmp_eq_u32 s7, 0
	s_cselect_b64 s[12:13], -1, 0
	s_and_b64 s[10:11], s[12:13], s[10:11]
	v_max_f32_e32 v1, v6, v8
	s_add_i32 s5, s5, 2
	s_add_i32 s6, s6, 16
	s_and_b64 vcc, exec, s[10:11]
	s_cbranch_vccnz .LBB17_16
; %bb.17:
	s_add_i32 s5, s5, -4
	s_and_b64 s[6:7], s[0:1], exec
	s_cselect_b32 s5, s5, s3
	s_or_b32 s5, s5, 1
	v_cndmask_b32_e64 v1, v1, v2, s[0:1]
	v_cndmask_b32_e64 v2, v4, v3, s[0:1]
	s_cmp_lg_u32 s3, s4
	v_max_f32_e32 v2, v2, v2
	v_max_f32_e32 v1, v1, v1
	s_cselect_b64 s[6:7], -1, 0
	v_max_f32_e32 v1, v1, v2
	s_or_b64 s[0:1], s[6:7], s[0:1]
	s_and_b64 vcc, exec, s[0:1]
	s_cbranch_vccnz .LBB17_19
	s_branch .LBB17_21
.LBB17_18:
	s_mov_b32 s5, 1
	s_cbranch_execz .LBB17_21
.LBB17_19:
	s_lshl_b32 s1, s5, 3
	s_sub_i32 s0, s19, s5
	s_add_i32 s1, s1, 0
.LBB17_20:                              ; =>This Inner Loop Header: Depth=1
	v_mov_b32_e32 v2, s1
	ds_read_b32 v2, v2
	s_waitcnt lgkmcnt(1)
	v_max_f32_e32 v1, v1, v1
	s_add_i32 s0, s0, -1
	s_add_i32 s1, s1, 8
	s_cmp_eq_u32 s0, 0
	s_waitcnt lgkmcnt(0)
	v_max_f32_e32 v2, v2, v2
	v_max_f32_e32 v1, v1, v2
	s_cbranch_scc0 .LBB17_20
.LBB17_21:
	s_cmp_lt_i32 s19, 1
	s_cbranch_scc1 .LBB17_26
; %bb.22:
	s_lshl_b32 s0, s2, 7
	s_ashr_i32 s1, s0, 31
	s_lshl_b64 s[0:1], s[0:1], 2
	s_add_u32 s16, s8, s0
	s_addc_u32 s17, s9, s1
	s_cmp_lt_u32 s19, 8
	s_cbranch_scc1 .LBB17_27
; %bb.23:
	v_mov_b32_e32 v7, 0
	s_and_b32 s20, s19, 0x7ffffff8
	v_or_b32_e32 v4, 0x380, v0
	s_mov_b32 s21, 0
	s_mov_b32 s22, 0x3fb8aa3b
	;; [unrolled: 1-line block ×4, first 2 shown]
	v_mov_b32_e32 v8, 0x7f800000
	s_mov_b32 s25, 0
	v_mov_b32_e32 v2, v7
	v_mov_b32_e32 v3, v7
.LBB17_24:                              ; =>This Inner Loop Header: Depth=1
	v_add_u32_e32 v6, 0xfffffc80, v4
	v_lshl_add_u64 v[26:27], v[6:7], 2, s[16:17]
	v_add_u32_e32 v6, 0xfffffd00, v4
	v_mov_b32_e32 v9, s21
	v_lshl_add_u64 v[30:31], v[6:7], 2, s[16:17]
	v_add_u32_e32 v6, 0xfffffd80, v4
	ds_read2_b64 v[10:13], v9 offset1:1
	ds_read2_b64 v[14:17], v9 offset0:2 offset1:3
	ds_read2_b64 v[18:21], v9 offset0:4 offset1:5
	;; [unrolled: 1-line block ×3, first 2 shown]
	global_load_dword v33, v[26:27], off
	global_load_dword v35, v[30:31], off
	v_lshl_add_u64 v[26:27], v[6:7], 2, s[16:17]
	v_add_u32_e32 v6, 0xfffffe00, v4
	v_lshl_add_u64 v[30:31], v[6:7], 2, s[16:17]
	v_add_u32_e32 v6, 0xfffffe80, v4
	global_load_dword v37, v[26:27], off
	global_load_dword v39, v[30:31], off
	v_lshl_add_u64 v[26:27], v[6:7], 2, s[16:17]
	v_add_u32_e32 v6, 0xffffff00, v4
	s_waitcnt lgkmcnt(3)
	v_mov_b32_e32 v32, v11
	v_sub_f32_e32 v9, v12, v1
	v_mov_b32_e32 v34, v13
	global_load_dword v11, v[26:27], off
	v_lshl_add_u64 v[12:13], v[6:7], 2, s[16:17]
	s_waitcnt lgkmcnt(2)
	v_mov_b32_e32 v36, v15
	v_add_u32_e32 v6, 0xffffff80, v4
	global_load_dword v15, v[12:13], off
	v_mov_b32_e32 v5, v7
	v_lshl_add_u64 v[12:13], v[6:7], 2, s[16:17]
	v_lshl_add_u64 v[28:29], v[4:5], 2, s[16:17]
	v_sub_f32_e32 v5, v10, v1
	v_mov_b32_e32 v38, v17
	s_waitcnt lgkmcnt(1)
	v_mov_b32_e32 v10, v19
	global_load_dword v17, v[12:13], off
	global_load_dword v19, v[28:29], off
	v_sub_f32_e32 v30, v14, v1
	v_sub_f32_e32 v31, v16, v1
	v_sub_f32_e32 v40, v18, v1
	v_mov_b32_e32 v14, v21
	s_waitcnt lgkmcnt(0)
	v_sub_f32_e32 v21, v22, v1
	v_mov_b32_e32 v16, v23
	v_sub_f32_e32 v22, v24, v1
	v_mul_f32_e32 v23, 0x3fb8aa3b, v5
	v_mov_b32_e32 v18, v25
	v_mul_f32_e32 v24, 0x3fb8aa3b, v9
	v_mul_f32_e32 v25, 0x3fb8aa3b, v30
	;; [unrolled: 1-line block ×5, first 2 shown]
	v_fma_f32 v43, v5, s22, -v23
	v_rndne_f32_e32 v44, v23
	v_sub_f32_e32 v20, v20, v1
	v_fma_f32 v45, v9, s22, -v24
	v_rndne_f32_e32 v46, v24
	v_fma_f32 v47, v30, s22, -v25
	v_rndne_f32_e32 v48, v25
	;; [unrolled: 2-line block ×5, first 2 shown]
	v_fmac_f32_e32 v43, 0x32a5705f, v5
	v_sub_f32_e32 v12, v23, v44
	v_mul_f32_e32 v26, 0x3fb8aa3b, v31
	v_mul_f32_e32 v41, 0x3fb8aa3b, v20
	v_fmac_f32_e32 v45, 0x32a5705f, v9
	v_sub_f32_e32 v23, v24, v46
	v_fmac_f32_e32 v47, 0x32a5705f, v30
	v_sub_f32_e32 v25, v25, v48
	;; [unrolled: 2-line block ×5, first 2 shown]
	v_add_f32_e32 v12, v12, v43
	v_fma_f32 v49, v31, s22, -v26
	v_rndne_f32_e32 v50, v26
	v_fma_f32 v53, v20, s22, -v41
	v_rndne_f32_e32 v54, v41
	v_cvt_i32_f32_e32 v13, v44
	v_add_f32_e32 v23, v23, v45
	v_add_f32_e32 v25, v25, v47
	;; [unrolled: 1-line block ×5, first 2 shown]
	v_exp_f32_e32 v12, v12
	v_cvt_i32_f32_e32 v24, v46
	v_cvt_i32_f32_e32 v28, v48
	v_fmac_f32_e32 v49, 0x32a5705f, v31
	v_sub_f32_e32 v26, v26, v50
	v_cvt_i32_f32_e32 v29, v50
	v_cvt_i32_f32_e32 v44, v52
	v_fmac_f32_e32 v53, 0x32a5705f, v20
	v_sub_f32_e32 v41, v41, v54
	v_cvt_i32_f32_e32 v48, v56
	v_cvt_i32_f32_e32 v50, v58
	v_exp_f32_e32 v23, v23
	v_exp_f32_e32 v25, v25
	;; [unrolled: 1-line block ×5, first 2 shown]
	v_add_f32_e32 v26, v26, v49
	v_add_f32_e32 v41, v41, v53
	v_cvt_i32_f32_e32 v46, v54
	v_exp_f32_e32 v26, v26
	v_exp_f32_e32 v41, v41
	v_ldexp_f32 v12, v12, v13
	v_cmp_ngt_f32_e64 s[12:13], s23, v5
	v_ldexp_f32 v13, v23, v24
	v_cmp_ngt_f32_e32 vcc, s23, v9
	v_ldexp_f32 v23, v25, v28
	v_ldexp_f32 v25, v27, v44
	v_ldexp_f32 v27, v42, v48
	v_cmp_ngt_f32_e64 s[8:9], s23, v21
	v_ldexp_f32 v6, v6, v50
	v_cmp_ngt_f32_e64 s[10:11], s23, v22
	v_cndmask_b32_e64 v12, 0, v12, s[12:13]
	v_cmp_nlt_f32_e64 s[12:13], s24, v5
	v_cmp_ngt_f32_e64 s[0:1], s23, v30
	v_cndmask_b32_e32 v13, 0, v13, vcc
	v_cmp_nlt_f32_e32 vcc, s24, v9
	v_cndmask_b32_e64 v27, 0, v27, s[8:9]
	v_cmp_nlt_f32_e64 s[8:9], s24, v21
	v_cndmask_b32_e64 v21, 0, v6, s[10:11]
	v_cndmask_b32_e64 v6, v8, v12, s[12:13]
	v_ldexp_f32 v24, v26, v29
	v_cmp_ngt_f32_e64 s[2:3], s23, v31
	v_cmp_ngt_f32_e64 s[4:5], s23, v40
	v_ldexp_f32 v26, v41, v46
	v_cmp_ngt_f32_e64 s[6:7], s23, v20
	v_cndmask_b32_e64 v9, 0, v23, s[0:1]
	v_cmp_nlt_f32_e64 s[0:1], s24, v30
	v_cndmask_b32_e32 v12, v8, v13, vcc
	s_waitcnt vmcnt(7)
	v_pk_fma_f32 v[2:3], v[6:7], v[32:33], v[2:3] op_sel_hi:[0,1,1]
	v_cndmask_b32_e64 v23, 0, v24, s[2:3]
	v_cmp_nlt_f32_e64 s[2:3], s24, v31
	v_cndmask_b32_e64 v24, 0, v25, s[4:5]
	v_cndmask_b32_e64 v25, 0, v26, s[6:7]
	v_cmp_nlt_f32_e64 s[6:7], s24, v20
	v_cndmask_b32_e64 v20, v8, v9, s[0:1]
	s_waitcnt vmcnt(6)
	v_pk_fma_f32 v[2:3], v[12:13], v[34:35], v[2:3] op_sel_hi:[0,1,1]
	v_cmp_nlt_f32_e64 s[4:5], s24, v40
	v_cmp_nlt_f32_e64 s[10:11], s24, v22
	v_cndmask_b32_e64 v22, v8, v23, s[2:3]
	s_waitcnt vmcnt(5)
	v_pk_fma_f32 v[2:3], v[20:21], v[36:37], v[2:3] op_sel_hi:[0,1,1]
	v_cndmask_b32_e64 v24, v8, v24, s[4:5]
	s_waitcnt vmcnt(4)
	v_pk_fma_f32 v[2:3], v[22:23], v[38:39], v[2:3] op_sel_hi:[0,1,1]
	;; [unrolled: 3-line block ×4, first 2 shown]
	s_add_i32 s25, s25, 8
	s_add_i32 s21, s21, 64
	v_cndmask_b32_e64 v30, v8, v21, s[10:11]
	s_waitcnt vmcnt(1)
	v_pk_fma_f32 v[2:3], v[28:29], v[16:17], v[2:3] op_sel_hi:[0,1,1]
	s_cmp_eq_u32 s20, s25
	v_add_u32_e32 v4, 0x400, v4
	s_waitcnt vmcnt(0)
	v_pk_fma_f32 v[2:3], v[30:31], v[18:19], v[2:3] op_sel_hi:[0,1,1]
	s_cbranch_scc0 .LBB17_24
; %bb.25:
	s_and_b32 s0, s19, 7
	s_cmp_eq_u32 s0, 0
	s_cbranch_scc0 .LBB17_28
	s_branch .LBB17_30
.LBB17_26:
	s_waitcnt lgkmcnt(0)
	v_mov_b32_e32 v1, 0x7fc00000
	s_branch .LBB17_31
.LBB17_27:
	v_mov_b32_e32 v2, 0
	s_mov_b32 s20, 0
	v_mov_b32_e32 v3, v2
	s_and_b32 s0, s19, 7
	s_cmp_eq_u32 s0, 0
	s_cbranch_scc1 .LBB17_30
.LBB17_28:
	s_lshl_b32 s1, s20, 3
	v_lshl_or_b32 v4, s20, 7, v0
	s_add_i32 s1, s1, 0
	s_mov_b32 s2, 0x3fb8aa3b
	s_mov_b32 s3, 0xc2ce8ed0
	s_mov_b32 s4, 0x42b17218
	v_mov_b32_e32 v6, 0x7f800000
	v_mov_b32_e32 v5, 0
.LBB17_29:                              ; =>This Inner Loop Header: Depth=1
	v_lshl_add_u64 v[8:9], v[4:5], 2, s[16:17]
	global_load_dword v9, v[8:9], off
	v_mov_b32_e32 v7, s1
	ds_read_b64 v[10:11], v7
	s_add_i32 s1, s1, 8
	s_add_i32 s0, s0, -1
	v_add_u32_e32 v4, 0x80, v4
	s_cmp_lg_u32 s0, 0
	s_waitcnt lgkmcnt(0)
	v_sub_f32_e32 v7, v10, v1
	v_mul_f32_e32 v8, 0x3fb8aa3b, v7
	v_fma_f32 v10, v7, s2, -v8
	v_rndne_f32_e32 v12, v8
	v_fmac_f32_e32 v10, 0x32a5705f, v7
	v_sub_f32_e32 v8, v8, v12
	v_add_f32_e32 v8, v8, v10
	v_cvt_i32_f32_e32 v12, v12
	v_exp_f32_e32 v10, v8
	v_cmp_ngt_f32_e32 vcc, s3, v7
	v_mov_b32_e32 v8, v11
	v_ldexp_f32 v10, v10, v12
	v_cndmask_b32_e32 v10, 0, v10, vcc
	v_cmp_nlt_f32_e32 vcc, s4, v7
	s_nop 1
	v_cndmask_b32_e32 v10, v6, v10, vcc
	s_waitcnt vmcnt(0)
	v_pk_fma_f32 v[2:3], v[10:11], v[8:9], v[2:3] op_sel_hi:[0,1,1]
	s_cbranch_scc1 .LBB17_29
.LBB17_30:
	s_waitcnt lgkmcnt(0)
	v_div_scale_f32 v1, s[0:1], v2, v2, v3
	v_rcp_f32_e32 v4, v1
	v_div_scale_f32 v5, vcc, v3, v2, v3
	v_fma_f32 v6, -v1, v4, 1.0
	v_fmac_f32_e32 v4, v6, v4
	v_mul_f32_e32 v6, v5, v4
	v_fma_f32 v7, -v1, v6, v5
	v_fmac_f32_e32 v6, v7, v4
	v_fma_f32 v1, -v1, v6, v5
	v_div_fmas_f32 v1, v1, v4, v6
	v_div_fixup_f32 v1, v1, v2, v3
.LBB17_31:
	s_lshl_b32 s0, s18, 7
	s_ashr_i32 s1, s0, 31
	s_lshl_b64 s[0:1], s[0:1], 2
	s_add_u32 s0, s14, s0
	s_addc_u32 s1, s15, s1
	v_lshlrev_b32_e32 v0, 2, v0
	global_store_dword v0, v1, s[0:1]
	s_endpgm
	.section	.rodata,"a",@progbits
	.p2align	6, 0x0
	.amdhsa_kernel _ZL26flash_attn_combine_resultsILi128EEvPKfPK15HIP_vector_typeIfLj2EEPfi
		.amdhsa_group_segment_fixed_size 0
		.amdhsa_private_segment_fixed_size 0
		.amdhsa_kernarg_size 288
		.amdhsa_user_sgpr_count 2
		.amdhsa_user_sgpr_dispatch_ptr 0
		.amdhsa_user_sgpr_queue_ptr 0
		.amdhsa_user_sgpr_kernarg_segment_ptr 1
		.amdhsa_user_sgpr_dispatch_id 0
		.amdhsa_user_sgpr_kernarg_preload_length 0
		.amdhsa_user_sgpr_kernarg_preload_offset 0
		.amdhsa_user_sgpr_private_segment_size 0
		.amdhsa_uses_dynamic_stack 0
		.amdhsa_enable_private_segment 0
		.amdhsa_system_sgpr_workgroup_id_x 1
		.amdhsa_system_sgpr_workgroup_id_y 1
		.amdhsa_system_sgpr_workgroup_id_z 1
		.amdhsa_system_sgpr_workgroup_info 0
		.amdhsa_system_vgpr_workitem_id 0
		.amdhsa_next_free_vgpr 59
		.amdhsa_next_free_sgpr 26
		.amdhsa_accum_offset 60
		.amdhsa_reserve_vcc 1
		.amdhsa_float_round_mode_32 0
		.amdhsa_float_round_mode_16_64 0
		.amdhsa_float_denorm_mode_32 3
		.amdhsa_float_denorm_mode_16_64 3
		.amdhsa_dx10_clamp 1
		.amdhsa_ieee_mode 1
		.amdhsa_fp16_overflow 0
		.amdhsa_tg_split 0
		.amdhsa_exception_fp_ieee_invalid_op 0
		.amdhsa_exception_fp_denorm_src 0
		.amdhsa_exception_fp_ieee_div_zero 0
		.amdhsa_exception_fp_ieee_overflow 0
		.amdhsa_exception_fp_ieee_underflow 0
		.amdhsa_exception_fp_ieee_inexact 0
		.amdhsa_exception_int_div_zero 0
	.end_amdhsa_kernel
	.section	.text._ZL26flash_attn_combine_resultsILi128EEvPKfPK15HIP_vector_typeIfLj2EEPfi,"axG",@progbits,_ZL26flash_attn_combine_resultsILi128EEvPKfPK15HIP_vector_typeIfLj2EEPfi,comdat
.Lfunc_end17:
	.size	_ZL26flash_attn_combine_resultsILi128EEvPKfPK15HIP_vector_typeIfLj2EEPfi, .Lfunc_end17-_ZL26flash_attn_combine_resultsILi128EEvPKfPK15HIP_vector_typeIfLj2EEPfi
                                        ; -- End function
	.set _ZL26flash_attn_combine_resultsILi128EEvPKfPK15HIP_vector_typeIfLj2EEPfi.num_vgpr, 59
	.set _ZL26flash_attn_combine_resultsILi128EEvPKfPK15HIP_vector_typeIfLj2EEPfi.num_agpr, 0
	.set _ZL26flash_attn_combine_resultsILi128EEvPKfPK15HIP_vector_typeIfLj2EEPfi.numbered_sgpr, 26
	.set _ZL26flash_attn_combine_resultsILi128EEvPKfPK15HIP_vector_typeIfLj2EEPfi.num_named_barrier, 0
	.set _ZL26flash_attn_combine_resultsILi128EEvPKfPK15HIP_vector_typeIfLj2EEPfi.private_seg_size, 0
	.set _ZL26flash_attn_combine_resultsILi128EEvPKfPK15HIP_vector_typeIfLj2EEPfi.uses_vcc, 1
	.set _ZL26flash_attn_combine_resultsILi128EEvPKfPK15HIP_vector_typeIfLj2EEPfi.uses_flat_scratch, 0
	.set _ZL26flash_attn_combine_resultsILi128EEvPKfPK15HIP_vector_typeIfLj2EEPfi.has_dyn_sized_stack, 0
	.set _ZL26flash_attn_combine_resultsILi128EEvPKfPK15HIP_vector_typeIfLj2EEPfi.has_recursion, 0
	.set _ZL26flash_attn_combine_resultsILi128EEvPKfPK15HIP_vector_typeIfLj2EEPfi.has_indirect_call, 0
	.section	.AMDGPU.csdata,"",@progbits
; Kernel info:
; codeLenInByte = 2924
; TotalNumSgprs: 32
; NumVgprs: 59
; NumAgprs: 0
; TotalNumVgprs: 59
; ScratchSize: 0
; MemoryBound: 0
; FloatMode: 240
; IeeeMode: 1
; LDSByteSize: 0 bytes/workgroup (compile time only)
; SGPRBlocks: 3
; VGPRBlocks: 7
; NumSGPRsForWavesPerEU: 32
; NumVGPRsForWavesPerEU: 59
; AccumOffset: 60
; Occupancy: 8
; WaveLimiterHint : 0
; COMPUTE_PGM_RSRC2:SCRATCH_EN: 0
; COMPUTE_PGM_RSRC2:USER_SGPR: 2
; COMPUTE_PGM_RSRC2:TRAP_HANDLER: 0
; COMPUTE_PGM_RSRC2:TGID_X_EN: 1
; COMPUTE_PGM_RSRC2:TGID_Y_EN: 1
; COMPUTE_PGM_RSRC2:TGID_Z_EN: 1
; COMPUTE_PGM_RSRC2:TIDIG_COMP_CNT: 0
; COMPUTE_PGM_RSRC3_GFX90A:ACCUM_OFFSET: 14
; COMPUTE_PGM_RSRC3_GFX90A:TG_SPLIT: 0
	.section	.text._ZL18flash_attn_ext_vecILi128ELi1EL9ggml_type3ELS0_30ELb1EEvPKcS2_S2_S2_S2_PKiPfP15HIP_vector_typeIfLj2EEffffjfiS6_IjLj3EEiiiiiiiiiiiliiliiiiil,"axG",@progbits,_ZL18flash_attn_ext_vecILi128ELi1EL9ggml_type3ELS0_30ELb1EEvPKcS2_S2_S2_S2_PKiPfP15HIP_vector_typeIfLj2EEffffjfiS6_IjLj3EEiiiiiiiiiiiliiliiiiil,comdat
	.globl	_ZL18flash_attn_ext_vecILi128ELi1EL9ggml_type3ELS0_30ELb1EEvPKcS2_S2_S2_S2_PKiPfP15HIP_vector_typeIfLj2EEffffjfiS6_IjLj3EEiiiiiiiiiiiliiliiiiil ; -- Begin function _ZL18flash_attn_ext_vecILi128ELi1EL9ggml_type3ELS0_30ELb1EEvPKcS2_S2_S2_S2_PKiPfP15HIP_vector_typeIfLj2EEffffjfiS6_IjLj3EEiiiiiiiiiiiliiliiiiil
	.p2align	8
	.type	_ZL18flash_attn_ext_vecILi128ELi1EL9ggml_type3ELS0_30ELb1EEvPKcS2_S2_S2_S2_PKiPfP15HIP_vector_typeIfLj2EEffffjfiS6_IjLj3EEiiiiiiiiiiiliiliiiiil,@function
_ZL18flash_attn_ext_vecILi128ELi1EL9ggml_type3ELS0_30ELb1EEvPKcS2_S2_S2_S2_PKiPfP15HIP_vector_typeIfLj2EEffffjfiS6_IjLj3EEiiiiiiiiiiiliiliiiiil: ; @_ZL18flash_attn_ext_vecILi128ELi1EL9ggml_type3ELS0_30ELb1EEvPKcS2_S2_S2_S2_PKiPfP15HIP_vector_typeIfLj2EEffffjfiS6_IjLj3EEiiiiiiiiiiiliiliiiiil
; %bb.0:
	s_load_dwordx2 s[34:35], s[0:1], 0x64
	s_load_dwordx2 s[42:43], s[0:1], 0x80
	;; [unrolled: 1-line block ×3, first 2 shown]
	v_mov_b32_e32 v59, 1.0
	s_waitcnt lgkmcnt(0)
	v_cvt_f32_u32_e32 v1, s35
	s_sub_i32 s5, 0, s35
	v_rcp_iflag_f32_e32 v1, v1
	s_nop 0
	v_mul_f32_e32 v1, 0x4f7ffffe, v1
	v_cvt_u32_f32_e32 v1, v1
	s_nop 0
	v_readfirstlane_b32 s6, v1
	s_mul_i32 s5, s5, s6
	s_mul_hi_u32 s5, s6, s5
	s_add_i32 s6, s6, s5
	s_mul_hi_u32 s5, s4, s6
	s_mul_i32 s6, s5, s35
	s_sub_i32 s6, s4, s6
	s_add_i32 s7, s5, 1
	s_sub_i32 s8, s6, s35
	s_cmp_ge_u32 s6, s35
	s_cselect_b32 s5, s7, s5
	s_cselect_b32 s6, s8, s6
	s_add_i32 s7, s5, 1
	s_cmp_ge_u32 s6, s35
	s_cselect_b32 s33, s7, s5
	s_abs_i32 s5, s43
	v_cvt_f32_u32_e32 v1, s5
	s_mul_i32 s14, s33, s35
	s_sub_i32 s15, 0, s5
	s_sub_i32 s40, s4, s14
	v_rcp_iflag_f32_e32 v1, v1
	s_abs_i32 s7, s35
	s_xor_b32 s6, s35, s43
	s_ashr_i32 s6, s6, 31
	v_mul_f32_e32 v1, 0x4f7ffffe, v1
	v_cvt_u32_f32_e32 v1, v1
	s_load_dwordx4 s[8:11], s[0:1], 0x40
	s_load_dwordx2 s[44:45], s[0:1], 0x50
	v_readfirstlane_b32 s4, v1
	s_mul_i32 s15, s15, s4
	s_mul_hi_u32 s14, s4, s15
	s_add_i32 s4, s4, s14
	s_mul_hi_u32 s4, s7, s4
	s_mul_i32 s14, s4, s5
	s_sub_i32 s7, s7, s14
	s_add_i32 s15, s4, 1
	s_sub_i32 s14, s7, s5
	s_cmp_ge_u32 s7, s5
	s_cselect_b32 s4, s15, s4
	s_cselect_b32 s7, s14, s7
	s_add_i32 s14, s4, 1
	s_cmp_ge_u32 s7, s5
	s_cselect_b32 s4, s14, s4
	s_xor_b32 s4, s4, s6
	s_sub_i32 s36, s4, s6
	s_abs_i32 s12, s12
	s_abs_i32 s46, s36
	v_cvt_f32_u32_e32 v1, s12
	v_cvt_f32_u32_e32 v2, s46
	s_sub_i32 s4, 0, s12
	s_sub_i32 s5, 0, s46
	v_rcp_iflag_f32_e32 v1, v1
	v_rcp_iflag_f32_e32 v2, v2
	s_abs_i32 s47, s40
	s_abs_i32 s43, s33
	v_mul_f32_e32 v1, 0x4f7ffffe, v1
	v_mul_f32_e32 v2, 0x4f7ffffe, v2
	v_cvt_u32_f32_e32 v1, v1
	v_cvt_u32_f32_e32 v2, v2
	v_readfirstlane_b32 s15, v1
	v_readfirstlane_b32 s14, v2
	s_mul_i32 s4, s4, s15
	s_mul_i32 s5, s5, s14
	s_mul_hi_u32 s5, s14, s5
	s_mul_hi_u32 s4, s15, s4
	s_add_i32 s14, s14, s5
	s_add_i32 s15, s15, s4
	s_waitcnt lgkmcnt(0)
	v_cmp_le_f32_e64 s[4:5], s9, 0
	s_and_b64 vcc, exec, s[4:5]
	s_cbranch_vccnz .LBB18_2
; %bb.1:
	v_mov_b32_e32 v1, s44
	v_sub_co_u32_e32 v1, vcc, s40, v1
	v_mov_b32_e32 v2, s11
	v_mov_b32_e32 v3, s10
	s_add_i32 s4, s40, 1
	v_lshlrev_b32_e32 v1, 1, v1
	v_cndmask_b32_e32 v2, v2, v3, vcc
	v_or_b32_e32 v1, 1, v1
	v_mov_b32_e32 v3, s4
	v_cndmask_b32_e32 v1, v1, v3, vcc
	v_cvt_f32_i32_e32 v1, v1
	v_cmp_neq_f32_e32 vcc, 1.0, v2
	s_mov_b32 s4, 0x3f2aaaab
	s_movk_i32 s6, 0x204
	v_cndmask_b32_e32 v1, 1.0, v1, vcc
	v_cmp_neq_f32_e32 vcc, 0, v1
	s_mov_b32 s5, 0x42b17218
	s_mov_b32 s7, 0x3fb8aa3b
	v_cndmask_b32_e32 v18, 1.0, v2, vcc
	v_frexp_mant_f32_e64 v2, |v18|
	v_cmp_gt_f32_e32 vcc, s4, v2
	s_mov_b32 s4, 0x3f317218
	s_brev_b32 s16, -2
	v_cndmask_b32_e64 v3, 1.0, 2.0, vcc
	v_mul_f32_e32 v2, v2, v3
	v_add_f32_e32 v5, 1.0, v2
	v_rcp_f32_e32 v10, v5
	v_add_f32_e32 v3, -1.0, v5
	v_sub_f32_e32 v7, v2, v3
	v_add_f32_e32 v3, -1.0, v2
	v_mul_f32_e32 v11, v3, v10
	v_mul_f32_e32 v4, v5, v11
	v_fma_f32 v6, v11, v5, -v4
	v_fmac_f32_e32 v6, v11, v7
	v_add_f32_e32 v2, v4, v6
	v_sub_f32_e32 v5, v3, v2
	v_pk_add_f32 v[8:9], v[2:3], v[4:5] neg_lo:[0,1] neg_hi:[0,1]
	v_mov_b32_e32 v7, v2
	v_pk_add_f32 v[2:3], v[8:9], v[6:7] neg_lo:[0,1] neg_hi:[0,1]
	v_mov_b32_e32 v6, 0x3e91f4c4
	v_add_f32_e32 v2, v2, v3
	v_add_f32_e32 v2, v5, v2
	v_mul_f32_e32 v3, v10, v2
	v_add_f32_e32 v2, v11, v3
	v_sub_f32_e32 v4, v2, v11
	v_sub_f32_e32 v12, v3, v4
	v_mul_f32_e32 v3, v2, v2
	v_fma_f32 v5, v2, v2, -v3
	v_add_f32_e32 v4, v12, v12
	v_fmac_f32_e32 v5, v2, v4
	v_add_f32_e32 v4, v3, v5
	v_fmac_f32_e32 v6, 0x3e76c4e1, v4
	v_fmaak_f32 v6, v4, v6, 0x3ecccdef
	v_sub_f32_e32 v3, v4, v3
	v_sub_f32_e32 v13, v5, v3
	v_mul_f32_e32 v3, v4, v6
	v_fma_f32 v5, v4, v6, -v3
	v_fmac_f32_e32 v5, v13, v6
	v_add_f32_e32 v6, v3, v5
	v_add_f32_e32 v7, 0x3f2aaaaa, v6
	v_sub_f32_e32 v3, v6, v3
	v_sub_f32_e32 v3, v5, v3
	v_add_f32_e32 v5, 0xbf2aaaaa, v7
	v_add_f32_e32 v3, 0x31739010, v3
	v_sub_f32_e32 v5, v6, v5
	v_pk_mul_f32 v[8:9], v[2:3], v[4:5]
	v_pk_add_f32 v[10:11], v[2:3], v[4:5]
	v_fma_f32 v6, v4, v2, -v8
	v_fmac_f32_e32 v6, v4, v12
	v_mov_b32_e32 v9, v11
	v_fmac_f32_e32 v6, v13, v2
	v_pk_add_f32 v[4:5], v[8:9], v[6:7]
	v_ldexp_f32 v14, v12, 1
	v_sub_f32_e32 v3, v4, v8
	v_sub_f32_e32 v3, v6, v3
	;; [unrolled: 1-line block ×3, first 2 shown]
	v_add_f32_e32 v9, v11, v6
	v_pk_mul_f32 v[6:7], v[4:5], v[4:5] op_sel:[0,1] op_sel_hi:[1,0]
	v_cvt_f64_f32_e64 v[10:11], |v18|
	v_frexp_exp_i32_f64_e32 v7, v[10:11]
	v_subbrev_co_u32_e32 v7, vcc, 0, v7, vcc
	v_cvt_f32_i32_e32 v7, v7
	v_fma_f32 v8, v4, v5, -v6
	v_fmac_f32_e32 v8, v4, v9
	v_fmac_f32_e32 v8, v3, v5
	v_mul_f32_e32 v4, 0x3f317218, v7
	v_fma_f32 v3, v7, s4, -v4
	v_fmamk_f32 v10, v7, 0xb102e308, v3
	v_ldexp_f32 v11, v2, 1
	v_add_f32_e32 v5, v6, v8
	v_pk_add_f32 v[2:3], v[4:5], v[10:11]
	v_mov_b32_e32 v12, v5
	v_mov_b32_e32 v13, v3
	;; [unrolled: 1-line block ×3, first 2 shown]
	v_pk_add_f32 v[6:7], v[12:13], v[6:7] neg_lo:[0,1] neg_hi:[0,1]
	v_mov_b32_e32 v9, v5
	v_pk_add_f32 v[6:7], v[8:9], v[6:7] neg_lo:[0,1] neg_hi:[0,1]
	v_mov_b32_e32 v11, v2
	v_add_f32_e32 v5, v14, v6
	v_add_f32_e32 v5, v5, v7
	v_pk_add_f32 v[6:7], v[2:3], v[4:5] neg_lo:[0,1] neg_hi:[0,1]
	v_pk_add_f32 v[8:9], v[2:3], v[4:5]
	v_mov_b32_e32 v16, v3
	v_mov_b32_e32 v7, v9
	v_pk_add_f32 v[12:13], v[10:11], v[6:7] neg_lo:[0,1] neg_hi:[0,1]
	v_pk_add_f32 v[6:7], v[10:11], v[6:7]
	v_mov_b32_e32 v4, v5
	v_pk_add_f32 v[10:11], v[6:7], v[2:3] op_sel:[1,0] op_sel_hi:[0,1] neg_lo:[0,1] neg_hi:[0,1]
	v_pk_add_f32 v[14:15], v[8:9], v[10:11] op_sel_hi:[1,0] neg_lo:[0,1] neg_hi:[0,1]
	v_mov_b32_e32 v8, v9
	v_mov_b32_e32 v9, v7
	v_mov_b32_e32 v17, v10
	v_pk_add_f32 v[8:9], v[8:9], v[16:17] neg_lo:[0,1] neg_hi:[0,1]
	v_mov_b32_e32 v5, v2
	v_pk_add_f32 v[2:3], v[4:5], v[8:9] neg_lo:[0,1] neg_hi:[0,1]
	v_mov_b32_e32 v14, v12
	v_pk_add_f32 v[4:5], v[14:15], v[2:3]
	v_mov_b32_e32 v13, v7
	v_pk_add_f32 v[8:9], v[4:5], v[4:5] op_sel:[0,1] op_sel_hi:[1,0]
	s_mov_b32 s4, 0x7f800000
	v_pk_add_f32 v[6:7], v[6:7], v[8:9] op_sel:[1,0] op_sel_hi:[0,1]
	v_mov_b32_e32 v5, v6
	v_pk_add_f32 v[10:11], v[4:5], v[12:13] neg_lo:[0,1] neg_hi:[0,1]
	v_mov_b32_e32 v3, v8
	v_sub_f32_e32 v4, v4, v10
	v_pk_add_f32 v[2:3], v[2:3], v[10:11] neg_lo:[0,1] neg_hi:[0,1]
	v_sub_f32_e32 v4, v12, v4
	v_add_f32_e32 v2, v2, v4
	v_add_f32_e32 v2, v2, v3
	;; [unrolled: 1-line block ×3, first 2 shown]
	v_sub_f32_e32 v4, v3, v6
	v_sub_f32_e32 v2, v2, v4
	v_mul_f32_e32 v4, v1, v3
	v_fma_f32 v3, v1, v3, -v4
	v_fmac_f32_e32 v3, v1, v2
	v_add_f32_e32 v2, v4, v3
	v_cmp_class_f32_e64 vcc, v4, s6
	v_sub_f32_e32 v5, v2, v4
	v_sub_f32_e32 v3, v3, v5
	v_cndmask_b32_e32 v2, v2, v4, vcc
	v_mov_b32_e32 v4, 0x37000000
	v_cmp_eq_f32_e32 vcc, s5, v2
	v_cmp_class_f32_e64 s[10:11], v18, s6
	s_nop 0
	v_cndmask_b32_e32 v4, 0, v4, vcc
	v_sub_f32_e32 v5, v2, v4
	v_mul_f32_e32 v6, 0x3fb8aa3b, v5
	v_fma_f32 v7, v5, s7, -v6
	v_rndne_f32_e32 v8, v6
	v_fmamk_f32 v7, v5, 0x32a5705f, v7
	v_sub_f32_e32 v6, v6, v8
	v_add_f32_e32 v6, v6, v7
	v_exp_f32_e32 v6, v6
	v_cvt_i32_f32_e32 v7, v8
	v_cmp_neq_f32_e64 vcc, |v2|, s4
	s_mov_b32 s4, 0xc2ce8ed0
	s_nop 0
	v_cndmask_b32_e32 v2, 0, v3, vcc
	v_ldexp_f32 v3, v6, v7
	v_cmp_ngt_f32_e32 vcc, s4, v5
	v_add_f32_e32 v2, v4, v2
	v_mov_b32_e32 v4, 0x7f800000
	v_cndmask_b32_e32 v3, 0, v3, vcc
	v_cmp_nlt_f32_e32 vcc, s5, v5
	v_mov_b32_e32 v5, 0x7fc00000
	s_nop 0
	v_cndmask_b32_e32 v3, v4, v3, vcc
	v_fma_f32 v2, v3, v2, v3
	v_cmp_class_f32_e64 vcc, v3, s6
	v_cmp_gt_f32_e64 s[6:7], 0, v1
	s_nop 0
	v_cndmask_b32_e32 v2, v2, v3, vcc
	v_trunc_f32_e32 v3, v1
	v_cmp_eq_f32_e32 vcc, v3, v1
	v_mul_f32_e32 v3, 0.5, v1
	v_trunc_f32_e32 v6, v3
	v_cmp_neq_f32_e64 s[4:5], v6, v3
	s_and_b64 s[4:5], vcc, s[4:5]
	s_nop 0
	v_cndmask_b32_e64 v3, 1.0, v18, s[4:5]
	v_bfi_b32 v2, s16, v2, v3
	v_cndmask_b32_e32 v3, v5, v2, vcc
	v_cmp_gt_f32_e32 vcc, 0, v18
	s_nop 1
	v_cndmask_b32_e32 v2, v2, v3, vcc
	v_cmp_eq_f32_e32 vcc, 0, v18
	s_xor_b64 s[6:7], s[6:7], vcc
	v_cndmask_b32_e64 v1, v4, 0, s[6:7]
	v_cndmask_b32_e64 v3, 0, v18, s[4:5]
	v_bfi_b32 v1, s16, v1, v3
	s_or_b64 vcc, vcc, s[10:11]
	v_cndmask_b32_e32 v1, v2, v1, vcc
	v_cmp_o_f32_e32 vcc, v18, v18
	s_nop 1
	v_cndmask_b32_e32 v59, v5, v1, vcc
.LBB18_2:
	s_load_dwordx16 s[16:31], s[0:1], 0x0
	v_bfe_u32 v52, v0, 10, 10
	v_and_b32_e32 v54, 0x3ff, v0
	s_mul_hi_u32 s11, s47, s14
	s_mul_hi_u32 s10, s43, s15
	v_cmp_eq_u32_e64 s[14:15], 0, v52
	v_lshlrev_b32_e32 v53, 4, v54
	v_mbcnt_lo_u32_b32 v55, -1, 0
	s_and_saveexec_b64 s[4:5], s[14:15]
	s_cbranch_execz .LBB18_7
; %bb.3:
	s_load_dwordx4 s[48:51], s[0:1], 0x70
	v_mbcnt_hi_u32_b32 v2, -1, v55
	v_and_b32_e32 v0, 0x60, v2
	v_xor_b32_e32 v1, 4, v2
	v_add_u32_e32 v7, 32, v0
	s_waitcnt lgkmcnt(0)
	s_mul_i32 s6, s33, s50
	s_mul_i32 s37, s48, s2
	;; [unrolled: 1-line block ×3, first 2 shown]
	s_add_i32 s6, s6, s37
	s_add_i32 s6, s6, s7
	s_ashr_i32 s7, s6, 31
	s_add_u32 s6, s16, s6
	s_addc_u32 s7, s17, s7
	global_load_dwordx4 v[8:11], v53, s[6:7]
	v_xor_b32_e32 v3, 2, v2
	v_cmp_lt_i32_e32 vcc, v1, v7
	v_xor_b32_e32 v4, 1, v2
	s_waitcnt vmcnt(0)
	v_mul_f32_e32 v6, s8, v8
	v_cndmask_b32_e32 v0, v2, v1, vcc
	v_cmp_lt_i32_e32 vcc, v3, v7
	v_mul_f32_e32 v5, s8, v10
	s_nop 0
	v_cndmask_b32_e32 v1, v2, v3, vcc
	v_lshlrev_b32_e32 v3, 2, v0
	v_lshlrev_b32_e32 v12, 2, v1
	v_mov_b32_e32 v0, v11
	v_mov_b32_e32 v1, v9
	v_pk_mul_f32 v[0:1], s[8:9], v[0:1] op_sel_hi:[0,1]
	v_max_f32_e64 v9, |v6|, |v1|
	v_max3_f32 v9, v9, |v5|, |v0|
	ds_bpermute_b32 v11, v3, v9
	v_fma_f32 v8, s8, v8, v1
	v_fmac_f32_e32 v8, s8, v10
	v_add_f32_e32 v8, v8, v0
	ds_bpermute_b32 v3, v3, v8
	s_waitcnt lgkmcnt(1)
	v_max_f32_e32 v10, v11, v11
	v_max_f32_e32 v9, v9, v10
	ds_bpermute_b32 v10, v12, v9
	v_cmp_lt_i32_e32 vcc, v4, v7
	s_waitcnt lgkmcnt(1)
	v_add_f32_e32 v3, v8, v3
	s_mov_b32 s8, 0x42fe0000
	v_cndmask_b32_e32 v2, v2, v4, vcc
	s_waitcnt lgkmcnt(0)
	v_max_f32_e32 v7, v10, v10
	v_lshlrev_b32_e32 v2, 2, v2
	v_max_f32_e32 v8, v9, v7
	ds_bpermute_b32 v4, v12, v3
	ds_bpermute_b32 v9, v2, v8
	v_mov_b32_e32 v7, 0
	s_waitcnt lgkmcnt(1)
	v_add_f32_e32 v3, v3, v4
	s_waitcnt lgkmcnt(0)
	v_max_f32_e32 v4, v9, v9
	v_max_f32_e32 v8, v8, v4
	v_div_scale_f32 v9, s[6:7], s8, s8, v8
	v_rcp_f32_e32 v10, v9
	ds_bpermute_b32 v4, v2, v3
	v_div_scale_f32 v2, vcc, v8, s8, v8
	v_fma_f32 v11, -v9, v10, 1.0
	v_fmac_f32_e32 v10, v11, v10
	v_mul_f32_e32 v11, v2, v10
	v_fma_f32 v12, -v9, v11, v2
	v_fmac_f32_e32 v11, v12, v10
	v_fma_f32 v2, -v9, v11, v2
	v_div_fmas_f32 v2, v2, v10, v11
	v_div_fixup_f32 v2, v2, s8, v8
	v_cmp_neq_f32_e32 vcc, 0, v2
	s_and_saveexec_b64 s[6:7], vcc
	s_cbranch_execz .LBB18_5
; %bb.4:
	v_div_scale_f32 v7, s[8:9], v2, v2, v6
	v_rcp_f32_e32 v8, v7
	v_div_scale_f32 v9, vcc, v6, v2, v6
	s_brev_b32 s16, -2
	v_fma_f32 v10, -v7, v8, 1.0
	v_fmac_f32_e32 v8, v10, v8
	v_mul_f32_e32 v10, v9, v8
	v_fma_f32 v11, -v7, v10, v9
	v_fmac_f32_e32 v10, v11, v8
	v_fma_f32 v7, -v7, v10, v9
	v_div_fmas_f32 v7, v7, v8, v10
	v_div_fixup_f32 v6, v7, v2, v6
	v_trunc_f32_e32 v7, v6
	v_sub_f32_e32 v8, v6, v7
	v_cmp_ge_f32_e64 s[8:9], |v8|, 0.5
	s_nop 1
	v_cndmask_b32_e64 v8, 0, 1.0, s[8:9]
	v_div_scale_f32 v9, s[8:9], v2, v2, v0
	v_rcp_f32_e32 v10, v9
	v_bfi_b32 v6, s16, v8, v6
	v_add_f32_e32 v6, v7, v6
	v_cvt_i32_f32_e32 v6, v6
	v_fma_f32 v7, -v9, v10, 1.0
	v_fmac_f32_e32 v10, v7, v10
	v_div_scale_f32 v7, vcc, v0, v2, v0
	v_mul_f32_e32 v8, v7, v10
	v_fma_f32 v11, -v9, v8, v7
	v_fmac_f32_e32 v8, v11, v10
	v_div_scale_f32 v11, s[8:9], v2, v2, v1
	v_rcp_f32_e32 v12, v11
	v_fma_f32 v7, -v9, v8, v7
	v_div_fmas_f32 v7, v7, v10, v8
	v_div_fixup_f32 v0, v7, v2, v0
	v_fma_f32 v8, -v11, v12, 1.0
	v_fmac_f32_e32 v12, v8, v12
	v_div_scale_f32 v8, vcc, v1, v2, v1
	v_mul_f32_e32 v9, v8, v12
	v_fma_f32 v10, -v11, v9, v8
	v_fmac_f32_e32 v9, v10, v12
	v_div_scale_f32 v10, s[8:9], v2, v2, v5
	v_rcp_f32_e32 v13, v10
	v_fma_f32 v8, -v11, v9, v8
	v_div_fmas_f32 v8, v8, v12, v9
	v_div_fixup_f32 v1, v8, v2, v1
	v_fma_f32 v9, -v10, v13, 1.0
	v_fmac_f32_e32 v13, v9, v13
	v_div_scale_f32 v9, vcc, v5, v2, v5
	v_mul_f32_e32 v11, v9, v13
	v_fma_f32 v12, -v10, v11, v9
	v_fmac_f32_e32 v11, v12, v13
	v_fma_f32 v9, -v10, v11, v9
	v_div_fmas_f32 v9, v9, v13, v11
	v_div_fixup_f32 v5, v9, v2, v5
	v_trunc_f32_e32 v9, v5
	v_sub_f32_e32 v10, v5, v9
	v_trunc_f32_e32 v7, v1
	v_cmp_ge_f32_e64 s[8:9], |v10|, 0.5
	v_sub_f32_e32 v8, v1, v7
	s_nop 0
	v_cndmask_b32_e64 v10, 0, 1.0, s[8:9]
	v_cmp_ge_f32_e64 s[8:9], |v8|, 0.5
	v_bfi_b32 v5, s16, v10, v5
	v_add_f32_e32 v5, v9, v5
	v_cndmask_b32_e64 v8, 0, 1.0, s[8:9]
	v_bfi_b32 v1, s16, v8, v1
	v_add_f32_e32 v1, v7, v1
	v_trunc_f32_e32 v7, v0
	v_sub_f32_e32 v8, v0, v7
	v_cmp_ge_f32_e64 s[8:9], |v8|, 0.5
	v_cvt_i32_f32_e32 v5, v5
	v_cvt_i32_f32_e32 v1, v1
	v_cndmask_b32_e64 v8, 0, 1.0, s[8:9]
	v_bfi_b32 v0, s16, v8, v0
	v_add_f32_e32 v0, v7, v0
	v_cvt_i32_f32_e32 v0, v0
	v_and_b32_e32 v5, 0xff, v5
	v_lshlrev_b32_e32 v5, 16, v5
	v_mov_b32_e32 v7, 8
	v_lshlrev_b32_sdwa v1, v7, v1 dst_sel:DWORD dst_unused:UNUSED_PAD src0_sel:DWORD src1_sel:BYTE_0
	v_lshl_or_b32 v0, v0, 24, v5
	v_and_b32_e32 v5, 0xff, v6
	v_or3_b32 v7, v0, v1, v5
.LBB18_5:
	s_or_b64 exec, exec, s[6:7]
	v_and_b32_e32 v1, 7, v54
	v_lshlrev_b32_e32 v0, 2, v54
	v_cmp_eq_u32_e32 vcc, 0, v1
	ds_write_b32 v0, v7
	s_and_b64 exec, exec, vcc
	s_cbranch_execz .LBB18_7
; %bb.6:
	s_waitcnt lgkmcnt(1)
	v_add_f32_e32 v3, v3, v4
	ds_write_b64 v54, v[2:3] offset:128
.LBB18_7:
	s_or_b64 exec, exec, s[4:5]
	v_and_b32_e32 v16, 3, v54
	v_lshlrev_b32_e32 v14, 2, v16
	v_mov_b32_e32 v50, 0
	s_waitcnt lgkmcnt(0)
	s_barrier
	ds_read2_b32 v[8:9], v14 offset1:4
	ds_read2_b32 v[10:11], v14 offset0:8 offset1:12
	ds_read_b128 v[0:3], v50 offset:128
	ds_read_b128 v[4:7], v50 offset:144
	ds_read2_b32 v[12:13], v14 offset0:16 offset1:20
	ds_read2_b32 v[14:15], v14 offset0:24 offset1:28
	s_ashr_i32 s41, s40, 31
	s_ashr_i32 s4, s36, 31
	;; [unrolled: 1-line block ×3, first 2 shown]
	s_cmp_eq_u64 s[26:27], 0
	s_waitcnt lgkmcnt(0)
	s_barrier
	s_cbranch_scc1 .LBB18_9
; %bb.8:
	s_load_dword s5, s[0:1], 0xd0
	s_mov_b32 s7, 0
	s_waitcnt lgkmcnt(0)
	s_mul_i32 s5, s5, s33
	s_add_i32 s6, s5, s2
	s_lshl_b64 s[6:7], s[6:7], 2
	s_add_u32 s6, s26, s6
	s_addc_u32 s7, s27, s7
	s_load_dword s42, s[6:7], 0x0
.LBB18_9:
	v_lshlrev_b32_e32 v17, 5, v52
	v_add_u32_e32 v56, v17, v54
	s_lshl_b32 s16, s3, 7
	s_mov_b32 s27, 0
	s_waitcnt lgkmcnt(0)
	s_cmp_ge_i32 s16, s42
	v_lshlrev_b32_e32 v58, 2, v54
	v_lshlrev_b32_e32 v57, 1, v56
	s_cbranch_scc1 .LBB18_37
; %bb.10:
	s_load_dwordx4 s[36:39], s[0:1], 0x98
	s_load_dwordx2 s[62:63], s[0:1], 0x8c
	s_load_dwordx2 s[6:7], s[0:1], 0xc8
	s_xor_b32 s4, s41, s4
	s_mul_i32 s10, s10, s12
	s_waitcnt lgkmcnt(0)
	s_mul_i32 s8, s37, s33
	s_mul_i32 s9, s36, s44
	s_mul_hi_u32 s5, s36, s33
	s_add_i32 s65, s9, s8
	s_add_i32 s37, s65, s5
	s_mul_i32 s5, s11, s46
	s_sub_i32 s5, s47, s5
	s_add_i32 s8, s11, 1
	s_sub_i32 s9, s5, s46
	s_cmp_ge_u32 s5, s46
	s_cselect_b32 s8, s8, s11
	s_cselect_b32 s5, s9, s5
	s_add_i32 s9, s8, 1
	s_cmp_ge_u32 s5, s46
	s_cselect_b32 s5, s9, s8
	s_xor_b32 s5, s5, s4
	s_sub_i32 s4, s5, s4
	s_mul_i32 s58, s4, s63
	s_mul_i32 s56, s4, s39
	s_sub_i32 s4, s43, s10
	s_ashr_i32 s59, s58, 31
	s_ashr_i32 s57, s56, 31
	s_sub_i32 s5, s4, s12
	s_cmp_ge_u32 s4, s12
	s_cselect_b32 s4, s5, s4
	s_sub_i32 s5, s4, s12
	s_cmp_ge_u32 s4, s12
	s_cselect_b32 s4, s5, s4
	v_mbcnt_hi_u32_b32 v19, -1, v55
	s_xor_b32 s4, s4, s44
	v_and_b32_e32 v20, 0x7c, v19
	s_sub_i32 s4, s4, s44
	v_add_u32_e32 v20, 4, v20
	v_xor_b32_e32 v21, 2, v19
	s_ashr_i32 s5, s4, 31
	s_load_dwordx2 s[60:61], s[0:1], 0xa8
	s_load_dword s8, s[0:1], 0xd4
	v_cmp_lt_i32_e32 vcc, v21, v20
	s_mul_i32 s5, s6, s5
	s_mul_hi_u32 s9, s6, s4
	v_cndmask_b32_e32 v21, v19, v21, vcc
	s_add_i32 s5, s9, s5
	s_mul_i32 s7, s7, s4
	s_mul_i32 s66, s13, s2
	v_and_b32_e32 v18, 0x7c, v54
	v_lshlrev_b32_e32 v60, 2, v21
	v_xor_b32_e32 v21, 1, v19
	s_add_i32 s39, s5, s7
	s_ashr_i32 s67, s66, 31
	v_add_u32_e32 v18, v17, v18
	v_cmp_lt_i32_e32 vcc, v21, v20
	v_and_b32_e32 v50, 12, v58
	v_mov_b32_e32 v51, 0
	v_cndmask_b32_e32 v20, v19, v21, vcc
	s_cmp_lg_u64 s[22:23], 0
	v_mul_lo_u32 v34, v18, s62
	v_mov_b32_e32 v24, s33
	v_lshlrev_b32_e32 v61, 2, v20
	s_cselect_b64 s[48:49], -1, 0
	v_and_b32_e32 v20, 0x60, v19
	s_waitcnt lgkmcnt(0)
	s_lshl_b32 s50, s8, 7
	v_add_u32_e32 v30, s62, v34
	v_mad_u64_u32 v[32:33], s[12:13], s36, v24, v[50:51]
	s_mul_i32 s43, s6, s4
	s_mov_b32 s17, s27
	v_add_u32_e32 v22, 32, v20
	v_cmp_eq_u32_e64 s[4:5], 3, v16
	v_cmp_eq_u32_e64 s[6:7], 0, v16
	;; [unrolled: 1-line block ×3, first 2 shown]
	v_add_u32_e32 v26, s62, v30
	v_cmp_eq_u32_e64 s[10:11], 2, v16
	v_xor_b32_e32 v16, 4, v19
	s_add_u32 s12, s18, s58
	s_mul_i32 s46, s62, s16
	s_mul_i32 s52, s50, s62
	v_add_u32_e32 v20, s62, v26
	v_cmp_lt_i32_e32 vcc, v16, v22
	s_addc_u32 s13, s19, s59
	s_lshl_b64 s[62:63], s[16:17], 1
	v_cndmask_b32_e32 v16, v19, v16, vcc
	s_add_u32 s17, s43, s62
	s_mul_i32 s64, s36, s33
	v_lshlrev_b32_e32 v62, 2, v16
	v_xor_b32_e32 v16, 8, v19
	s_addc_u32 s36, s39, s63
	v_cmp_lt_i32_e32 vcc, v16, v22
	s_add_u32 s22, s22, s66
	s_addc_u32 s23, s23, s67
	v_cndmask_b32_e32 v16, v19, v16, vcc
	v_lshlrev_b32_e32 v63, 2, v16
	v_xor_b32_e32 v16, 16, v19
	s_add_u32 s22, s22, s17
	s_mov_b32 s51, s27
	v_cmp_lt_i32_e32 vcc, v16, v22
	v_lshlrev_b32_e32 v50, 1, v18
	s_addc_u32 s23, s23, s36
	v_cndmask_b32_e32 v16, v19, v16, vcc
	v_lshl_add_u64 v[18:19], s[22:23], 0, v[50:51]
	s_lshl_b64 s[22:23], s[50:51], 1
	v_and_b32_e32 v25, 7, v54
	v_lshrrev_b32_e32 v23, 3, v54
	s_add_u32 s62, s12, s64
	v_lshlrev_b32_e32 v50, 4, v25
	s_mul_i32 s17, s61, s33
	s_mul_i32 s36, s60, s44
	v_add_u32_e32 v67, v17, v23
	s_addc_u32 s63, s13, s37
	s_add_i32 s36, s36, s17
	v_mad_u64_u32 v[48:49], s[60:61], s60, v24, v[50:51]
	v_add_u32_e32 v49, s36, v49
	v_mul_lo_u32 v28, s38, v67
	v_ashrrev_i32_e32 v31, 31, v30
	v_ashrrev_i32_e32 v27, 31, v26
	;; [unrolled: 1-line block ×3, first 2 shown]
	v_lshlrev_b32_e32 v64, 2, v16
	v_or_b32_e32 v16, v17, v23
	v_add_u32_e32 v33, s65, v33
	v_lshl_add_u64 v[24:25], v[48:49], 0, s[56:57]
	v_ashrrev_i32_e32 v29, 31, v28
	v_lshlrev_b32_e32 v65, 1, v16
	v_lshl_add_u64 v[16:17], v[32:33], 0, v[20:21]
	v_lshl_add_u64 v[22:23], v[32:33], 0, v[26:27]
	;; [unrolled: 1-line block ×7, first 2 shown]
	s_add_u32 s12, s64, s58
	s_addc_u32 s13, s37, s59
	s_add_u32 s12, s18, s12
	v_add_u32_e32 v36, 4, v67
	v_add_u32_e32 v38, 28, v67
	;; [unrolled: 1-line block ×7, first 2 shown]
	v_ashrrev_i32_e32 v35, 31, v34
	v_lshl_add_u64 v[32:33], v[32:33], 0, s[58:59]
	s_addc_u32 s13, s19, s13
	v_mul_lo_u32 v36, s38, v36
	v_mul_lo_u32 v38, s38, v38
	;; [unrolled: 1-line block ×7, first 2 shown]
	v_lshl_add_u64 v[32:33], v[32:33], 0, v[34:35]
	v_lshl_add_u64 v[34:35], s[12:13], 0, v[34:35]
	v_ashrrev_i32_e32 v37, 31, v36
	s_add_u32 s12, s20, s56
	v_ashrrev_i32_e32 v39, 31, v38
	v_ashrrev_i32_e32 v41, 31, v40
	;; [unrolled: 1-line block ×6, first 2 shown]
	v_lshl_add_u64 v[36:37], v[48:49], 0, v[36:37]
	s_addc_u32 s13, s21, s57
	v_lshl_add_u64 v[38:39], v[48:49], 0, v[38:39]
	v_lshl_add_u64 v[40:41], v[48:49], 0, v[40:41]
	;; [unrolled: 1-line block ×6, first 2 shown]
                                        ; implicit-def: $vgpr50
                                        ; implicit-def: $vgpr50
	;; [unrolled: 1-line block ×3, first 2 shown]
	s_mul_i32 s26, s38, s16
	s_mov_b32 s47, s27
	s_mov_b32 s53, s27
	s_mul_i32 s54, s50, s38
	s_mov_b32 s55, s27
	v_lshlrev_b32_e32 v66, 1, v67
	v_lshl_add_u64 v[18:19], v[18:19], 0, 6
	v_lshl_add_u64 v[20:21], s[62:63], 0, v[20:21]
	;; [unrolled: 1-line block ×14, first 2 shown]
	v_mov_b32_e32 v77, 0xfeffffff
	s_mov_b32 s17, 0x3f200000
	s_mov_b32 s20, 0x3fb8aa3b
	;; [unrolled: 1-line block ×4, first 2 shown]
	v_mov_b32_e32 v67, 0x3ca908c9
	s_brev_b32 s37, -2
	v_mov_b32_e32 v68, 0x7f800000
	v_mov_b32_e32 v70, v51
	;; [unrolled: 1-line block ×9, first 2 shown]
                                        ; implicit-def: $vgpr69
.LBB18_11:                              ; =>This Inner Loop Header: Depth=1
	v_lshl_add_u64 v[80:81], v[32:33], 0, s[46:47]
	v_lshl_add_u64 v[78:79], v[34:35], 0, s[46:47]
	global_load_dword v82, v[80:81], off offset:4
	global_load_dword v83, v[78:79], off offset:-60
	global_load_dword v84, v[80:81], off offset:24
	global_load_dword v85, v[78:79], off offset:-40
	;; [unrolled: 2-line block ×3, first 2 shown]
	global_load_dword v88, v[80:81], off offset:64
	global_load_dword v89, v[78:79], off
	v_mov_b32_e32 v78, 0
	v_mov_b32_e32 v80, 0
	;; [unrolled: 1-line block ×8, first 2 shown]
	s_waitcnt vmcnt(7)
	v_and_b32_e32 v79, 0xf0f0f0f, v82
	v_lshrrev_b32_e32 v82, 4, v82
	s_waitcnt vmcnt(6)
	v_cvt_f32_f16_sdwa v96, v83 dst_sel:DWORD dst_unused:UNUSED_PAD src0_sel:WORD_1
	v_dot4c_i32_i8_e32 v78, v79, v8
	v_and_b32_e32 v79, 0xf0f0f0f, v82
	v_cvt_f32_f16_e32 v95, v83
	s_waitcnt vmcnt(5)
	v_and_b32_e32 v83, 0xf0f0f0f, v84
	v_lshrrev_b32_e32 v84, 4, v84
	s_waitcnt vmcnt(2)
	v_cvt_f32_f16_e32 v99, v87
	v_cvt_f32_f16_sdwa v87, v87 dst_sel:DWORD dst_unused:UNUSED_PAD src0_sel:WORD_1
	v_dot4c_i32_i8_e32 v80, v79, v9
	v_cvt_f32_f16_e32 v97, v85
	v_cvt_f32_f16_sdwa v98, v85 dst_sel:DWORD dst_unused:UNUSED_PAD src0_sel:WORD_1
	v_and_b32_e32 v85, 0xf0f0f0f, v86
	v_lshrrev_b32_e32 v86, 4, v86
	s_waitcnt vmcnt(1)
	v_and_b32_e32 v100, 0xf0f0f0f, v88
	v_lshrrev_b32_e32 v88, 4, v88
	v_and_b32_e32 v82, 0xf0f0f0f, v84
	v_cvt_f32_i32_e32 v79, v78
	v_cvt_f32_i32_e32 v78, v80
	s_waitcnt vmcnt(0)
	v_cvt_f32_f16_e32 v101, v89
	v_cvt_f32_f16_sdwa v89, v89 dst_sel:DWORD dst_unused:UNUSED_PAD src0_sel:WORD_1
	v_dot4c_i32_i8_e32 v81, v83, v10
	v_dot4c_i32_i8_e32 v91, v85, v12
	v_and_b32_e32 v83, 0xf0f0f0f, v86
	v_and_b32_e32 v84, 0xf0f0f0f, v88
	v_dot4c_i32_i8_e32 v90, v82, v11
	v_cvt_f32_i32_e32 v81, v81
	v_dot4c_i32_i8_e32 v92, v83, v13
	v_cvt_f32_i32_e32 v83, v91
	;; [unrolled: 2-line block ×3, first 2 shown]
	v_mul_f32_e32 v91, v1, v96
	v_dot4c_i32_i8_e32 v93, v100, v14
	v_cvt_f32_i32_e32 v84, v94
	v_mul_f32_e32 v86, v0, v95
	v_mul_f32_e32 v87, v5, v87
	;; [unrolled: 1-line block ×3, first 2 shown]
	v_cvt_f32_i32_e32 v85, v93
	v_cvt_f32_i32_e32 v82, v92
	v_mul_f32_e32 v93, v3, v98
	v_pk_fma_f32 v[78:79], v[86:87], v[78:79], v[94:95] op_sel_hi:[0,1,0]
	v_mul_f32_e32 v88, v2, v97
	v_mul_f32_e32 v89, v7, v89
	;; [unrolled: 1-line block ×3, first 2 shown]
	v_add_f32_e32 v79, 0, v79
	v_pk_fma_f32 v[80:81], v[88:89], v[80:81], v[96:97] op_sel_hi:[0,1,0]
	v_add_f32_e32 v78, v78, v79
	v_mul_f32_e32 v90, v4, v99
	v_mul_f32_e32 v98, 0x3e000000, v87
	v_add_f32_e32 v78, v78, v81
	v_pk_fma_f32 v[82:83], v[90:91], v[82:83], v[98:99] op_sel_hi:[0,1,0]
	v_add_f32_e32 v78, v80, v78
	v_mul_f32_e32 v92, v6, v101
	v_mul_f32_e32 v100, 0x3e000000, v89
	v_add_f32_e32 v78, v78, v83
	v_add_f32_e32 v80, v82, v78
	v_pk_fma_f32 v[78:79], v[92:93], v[84:85], v[100:101] op_sel_hi:[0,1,0]
	v_add_f32_e32 v79, v80, v79
	v_add_f32_e32 v78, v78, v79
	ds_bpermute_b32 v79, v60, v78
	s_waitcnt lgkmcnt(0)
	v_add_f32_e32 v78, v78, v79
	ds_bpermute_b32 v79, v61, v78
	s_waitcnt lgkmcnt(0)
	v_add_f32_e32 v78, v78, v79
	v_cmp_nlt_f32_e64 s[12:13], |v78|, s17
                                        ; implicit-def: $vgpr79
	s_and_saveexec_b64 s[18:19], s[12:13]
	s_xor_b64 s[12:13], exec, s[18:19]
	s_cbranch_execz .LBB18_13
; %bb.12:                               ;   in Loop: Header=BB18_11 Depth=1
	v_add_f32_e64 v79, |v78|, |v78|
	v_mul_f32_e32 v80, 0x3fb8aa3b, v79
	v_rndne_f32_e32 v81, v80
	v_sub_f32_e32 v82, v80, v81
	v_fma_f32 v80, v79, s20, -v80
	v_fmac_f32_e32 v80, 0x32a5705f, v79
	v_add_f32_e32 v80, v82, v80
	v_cvt_i32_f32_e32 v81, v81
	v_exp_f32_e32 v80, v80
	v_cmp_ngt_f32_e32 vcc, s21, v79
	v_ldexp_f32 v80, v80, v81
	s_nop 0
	v_cndmask_b32_e32 v80, 0, v80, vcc
	v_cmp_nlt_f32_e32 vcc, s36, v79
	s_nop 1
	v_cndmask_b32_e32 v79, v68, v80, vcc
	v_add_f32_e32 v79, 1.0, v79
	v_rcp_f32_e32 v79, v79
	s_nop 0
	v_fma_f32 v79, v79, -2.0, 1.0
.LBB18_13:                              ;   in Loop: Header=BB18_11 Depth=1
	s_andn2_saveexec_b64 s[12:13], s[12:13]
; %bb.14:                               ;   in Loop: Header=BB18_11 Depth=1
	v_mul_f32_e32 v79, v78, v78
	v_fmamk_f32 v80, v79, 0xbbbac73d, v67
	v_fmaak_f32 v80, v79, v80, 0xbd5c1c4e
	v_fmaak_f32 v80, v79, v80, 0x3e088382
	;; [unrolled: 1-line block ×3, first 2 shown]
	v_mul_f32_e64 v80, |v78|, v80
	v_fma_f32 v79, v79, v80, |v78|
; %bb.15:                               ;   in Loop: Header=BB18_11 Depth=1
	s_or_b64 exec, exec, s[12:13]
	v_bfi_b32 v78, s37, v79, v78
	v_cndmask_b32_e64 v79, 0, 1, s[48:49]
	v_cmp_ne_u32_e64 s[12:13], 1, v79
	s_andn2_b64 vcc, exec, s[48:49]
	v_mul_f32_e32 v78, s45, v78
	s_cbranch_vccnz .LBB18_17
; %bb.16:                               ;   in Loop: Header=BB18_11 Depth=1
	global_load_ushort v79, v[18:19], off offset:-6
	s_waitcnt vmcnt(0)
	v_fma_mix_f32 v78, v59, v79, v78 op_sel_hi:[0,1,0]
.LBB18_17:                              ;   in Loop: Header=BB18_11 Depth=1
	v_lshl_add_u64 v[82:83], v[28:29], 0, s[46:47]
	v_lshl_add_u64 v[80:81], v[30:31], 0, s[46:47]
	global_load_dword v79, v[82:83], off offset:4
	global_load_dword v84, v[80:81], off
	global_load_dword v85, v[82:83], off offset:24
	global_load_dword v86, v[80:81], off offset:20
	;; [unrolled: 1-line block ×6, first 2 shown]
	v_mov_b32_e32 v80, 0
	v_mov_b32_e32 v82, 0
	v_mov_b32_e32 v83, 0
	v_mov_b32_e32 v91, 0
	v_mov_b32_e32 v92, 0
	v_mov_b32_e32 v93, 0
	v_mov_b32_e32 v94, 0
	v_mov_b32_e32 v95, 0
	s_waitcnt vmcnt(7)
	v_and_b32_e32 v81, 0xf0f0f0f, v79
	v_lshrrev_b32_e32 v79, 4, v79
	s_waitcnt vmcnt(6)
	v_cvt_f32_f16_sdwa v97, v84 dst_sel:DWORD dst_unused:UNUSED_PAD src0_sel:WORD_1
	v_and_b32_e32 v79, 0xf0f0f0f, v79
	v_cvt_f32_f16_e32 v96, v84
	s_waitcnt vmcnt(5)
	v_and_b32_e32 v84, 0xf0f0f0f, v85
	s_waitcnt vmcnt(4)
	v_cvt_f32_f16_sdwa v99, v86 dst_sel:DWORD dst_unused:UNUSED_PAD src0_sel:WORD_1
	v_lshrrev_b32_e32 v85, 4, v85
	v_dot4c_i32_i8_e32 v80, v81, v8
	v_dot4c_i32_i8_e32 v82, v79, v9
	;; [unrolled: 1-line block ×3, first 2 shown]
	v_and_b32_e32 v84, 0xf0f0f0f, v85
	v_cvt_f32_i32_e32 v81, v80
	v_cvt_f32_i32_e32 v80, v82
	v_cvt_f32_f16_e32 v98, v86
	s_waitcnt vmcnt(3)
	v_and_b32_e32 v86, 0xf0f0f0f, v87
	s_waitcnt vmcnt(2)
	v_cvt_f32_f16_sdwa v101, v88 dst_sel:DWORD dst_unused:UNUSED_PAD src0_sel:WORD_1
	v_lshrrev_b32_e32 v87, 4, v87
	v_dot4c_i32_i8_e32 v91, v84, v11
	v_cvt_f32_f16_e32 v100, v88
	s_waitcnt vmcnt(1)
	v_and_b32_e32 v88, 0xf0f0f0f, v89
	v_lshrrev_b32_e32 v89, 4, v89
	v_and_b32_e32 v85, 0xf0f0f0f, v87
	v_cvt_f32_i32_e32 v83, v83
	v_cvt_f32_i32_e32 v82, v91
	v_mul_f32_e32 v79, v1, v97
	s_waitcnt vmcnt(0)
	v_cvt_f32_f16_sdwa v103, v90 dst_sel:DWORD dst_unused:UNUSED_PAD src0_sel:WORD_1
	v_dot4c_i32_i8_e32 v92, v86, v12
	v_dot4c_i32_i8_e32 v94, v88, v14
	v_and_b32_e32 v86, 0xf0f0f0f, v89
	v_dot4c_i32_i8_e32 v93, v85, v13
	v_mul_f32_e32 v88, v0, v96
	v_mul_f32_e32 v89, v3, v99
	;; [unrolled: 1-line block ×3, first 2 shown]
	v_cvt_f32_i32_e32 v85, v92
	v_cvt_f32_i32_e32 v84, v93
	v_pk_fma_f32 v[80:81], v[88:89], v[80:81], v[96:97] op_sel_hi:[0,1,0]
	v_cvt_f32_f16_e32 v102, v90
	v_dot4c_i32_i8_e32 v95, v86, v15
	v_mul_f32_e32 v90, v2, v98
	v_mul_f32_e32 v91, v5, v101
	;; [unrolled: 1-line block ×3, first 2 shown]
	v_add_f32_e32 v79, 0, v81
	v_cvt_f32_i32_e32 v87, v94
	v_cvt_f32_i32_e32 v86, v95
	v_pk_fma_f32 v[82:83], v[90:91], v[82:83], v[98:99] op_sel_hi:[0,1,0]
	v_add_f32_e32 v79, v80, v79
	v_mul_f32_e32 v92, v4, v100
	v_mul_f32_e32 v93, v7, v103
	;; [unrolled: 1-line block ×3, first 2 shown]
	v_add_f32_e32 v79, v79, v83
	v_pk_fma_f32 v[84:85], v[92:93], v[84:85], v[100:101] op_sel_hi:[0,1,0]
	v_add_f32_e32 v79, v82, v79
	v_mul_f32_e32 v94, v6, v102
	v_mul_f32_e32 v102, 0x3e000000, v93
	v_add_f32_e32 v79, v79, v85
	v_add_f32_e32 v79, v84, v79
	v_pk_fma_f32 v[80:81], v[94:95], v[86:87], v[102:103] op_sel_hi:[0,1,0]
	v_add_f32_e32 v79, v79, v81
	v_add_f32_e32 v79, v80, v79
	ds_bpermute_b32 v80, v60, v79
	s_waitcnt lgkmcnt(0)
	v_add_f32_e32 v79, v79, v80
	ds_bpermute_b32 v80, v61, v79
	s_waitcnt lgkmcnt(0)
	v_add_f32_e32 v79, v79, v80
	v_cmp_nlt_f32_e64 s[18:19], |v79|, s17
                                        ; implicit-def: $vgpr80
	s_and_saveexec_b64 s[38:39], s[18:19]
	s_xor_b64 s[18:19], exec, s[38:39]
	s_cbranch_execz .LBB18_19
; %bb.18:                               ;   in Loop: Header=BB18_11 Depth=1
	v_add_f32_e64 v80, |v79|, |v79|
	v_mul_f32_e32 v81, 0x3fb8aa3b, v80
	v_rndne_f32_e32 v82, v81
	v_sub_f32_e32 v83, v81, v82
	v_fma_f32 v81, v80, s20, -v81
	v_fmac_f32_e32 v81, 0x32a5705f, v80
	v_add_f32_e32 v81, v83, v81
	v_cvt_i32_f32_e32 v82, v82
	v_exp_f32_e32 v81, v81
	v_cmp_ngt_f32_e32 vcc, s21, v80
	v_ldexp_f32 v81, v81, v82
	s_nop 0
	v_cndmask_b32_e32 v81, 0, v81, vcc
	v_cmp_nlt_f32_e32 vcc, s36, v80
	s_nop 1
	v_cndmask_b32_e32 v80, v68, v81, vcc
	v_add_f32_e32 v80, 1.0, v80
	v_rcp_f32_e32 v80, v80
	s_nop 0
	v_fma_f32 v80, v80, -2.0, 1.0
.LBB18_19:                              ;   in Loop: Header=BB18_11 Depth=1
	s_andn2_saveexec_b64 s[18:19], s[18:19]
; %bb.20:                               ;   in Loop: Header=BB18_11 Depth=1
	v_mul_f32_e32 v80, v79, v79
	v_fmamk_f32 v81, v80, 0xbbbac73d, v67
	v_fmaak_f32 v81, v80, v81, 0xbd5c1c4e
	v_fmaak_f32 v81, v80, v81, 0x3e088382
	;; [unrolled: 1-line block ×3, first 2 shown]
	v_mul_f32_e64 v81, |v79|, v81
	v_fma_f32 v80, v80, v81, |v79|
; %bb.21:                               ;   in Loop: Header=BB18_11 Depth=1
	s_or_b64 exec, exec, s[18:19]
	v_bfi_b32 v79, s37, v80, v79
	s_and_b64 vcc, exec, s[12:13]
	v_mul_f32_e32 v79, s45, v79
	s_cbranch_vccnz .LBB18_23
; %bb.22:                               ;   in Loop: Header=BB18_11 Depth=1
	global_load_ushort v80, v[18:19], off offset:-4
	s_waitcnt vmcnt(0)
	v_fma_mix_f32 v79, v59, v80, v79 op_sel_hi:[0,1,0]
.LBB18_23:                              ;   in Loop: Header=BB18_11 Depth=1
	v_lshl_add_u64 v[82:83], v[22:23], 0, s[46:47]
	v_lshl_add_u64 v[80:81], v[26:27], 0, s[46:47]
	global_load_dword v84, v[82:83], off offset:4
	global_load_dword v85, v[80:81], off
	global_load_dword v86, v[82:83], off offset:24
	global_load_dword v87, v[80:81], off offset:20
	;; [unrolled: 1-line block ×6, first 2 shown]
	v_mov_b32_e32 v80, 0
	v_mov_b32_e32 v82, 0
	;; [unrolled: 1-line block ×8, first 2 shown]
	s_waitcnt vmcnt(7)
	v_and_b32_e32 v81, 0xf0f0f0f, v84
	v_lshrrev_b32_e32 v84, 4, v84
	s_waitcnt vmcnt(6)
	v_cvt_f32_f16_sdwa v98, v85 dst_sel:DWORD dst_unused:UNUSED_PAD src0_sel:WORD_1
	v_dot4c_i32_i8_e32 v80, v81, v8
	v_and_b32_e32 v81, 0xf0f0f0f, v84
	v_cvt_f32_f16_e32 v97, v85
	s_waitcnt vmcnt(5)
	v_and_b32_e32 v85, 0xf0f0f0f, v86
	v_lshrrev_b32_e32 v86, 4, v86
	s_waitcnt vmcnt(2)
	v_cvt_f32_f16_e32 v101, v89
	v_cvt_f32_f16_sdwa v89, v89 dst_sel:DWORD dst_unused:UNUSED_PAD src0_sel:WORD_1
	v_dot4c_i32_i8_e32 v82, v81, v9
	v_cvt_f32_f16_e32 v99, v87
	v_cvt_f32_f16_sdwa v100, v87 dst_sel:DWORD dst_unused:UNUSED_PAD src0_sel:WORD_1
	v_and_b32_e32 v87, 0xf0f0f0f, v88
	v_lshrrev_b32_e32 v88, 4, v88
	s_waitcnt vmcnt(1)
	v_and_b32_e32 v102, 0xf0f0f0f, v90
	v_lshrrev_b32_e32 v90, 4, v90
	v_and_b32_e32 v84, 0xf0f0f0f, v86
	v_cvt_f32_i32_e32 v81, v80
	v_cvt_f32_i32_e32 v80, v82
	s_waitcnt vmcnt(0)
	v_cvt_f32_f16_e32 v103, v91
	v_cvt_f32_f16_sdwa v91, v91 dst_sel:DWORD dst_unused:UNUSED_PAD src0_sel:WORD_1
	v_dot4c_i32_i8_e32 v83, v85, v10
	v_dot4c_i32_i8_e32 v93, v87, v12
	v_and_b32_e32 v85, 0xf0f0f0f, v88
	v_and_b32_e32 v86, 0xf0f0f0f, v90
	v_dot4c_i32_i8_e32 v92, v84, v11
	v_cvt_f32_i32_e32 v83, v83
	v_dot4c_i32_i8_e32 v94, v85, v13
	v_cvt_f32_i32_e32 v85, v93
	;; [unrolled: 2-line block ×3, first 2 shown]
	v_mul_f32_e32 v93, v1, v98
	v_dot4c_i32_i8_e32 v95, v102, v14
	v_cvt_f32_i32_e32 v86, v96
	v_mul_f32_e32 v88, v0, v97
	v_mul_f32_e32 v89, v5, v89
	;; [unrolled: 1-line block ×3, first 2 shown]
	v_cvt_f32_i32_e32 v87, v95
	v_cvt_f32_i32_e32 v84, v94
	v_mul_f32_e32 v95, v3, v100
	v_pk_fma_f32 v[80:81], v[88:89], v[80:81], v[96:97] op_sel_hi:[0,1,0]
	v_mul_f32_e32 v90, v2, v99
	v_mul_f32_e32 v91, v7, v91
	;; [unrolled: 1-line block ×3, first 2 shown]
	v_add_f32_e32 v81, 0, v81
	v_pk_fma_f32 v[82:83], v[90:91], v[82:83], v[98:99] op_sel_hi:[0,1,0]
	v_add_f32_e32 v80, v80, v81
	v_mul_f32_e32 v92, v4, v101
	v_mul_f32_e32 v100, 0x3e000000, v89
	v_add_f32_e32 v80, v80, v83
	v_pk_fma_f32 v[84:85], v[92:93], v[84:85], v[100:101] op_sel_hi:[0,1,0]
	v_add_f32_e32 v80, v82, v80
	v_mul_f32_e32 v94, v6, v103
	v_mul_f32_e32 v102, 0x3e000000, v91
	v_add_f32_e32 v80, v80, v85
	v_add_f32_e32 v82, v84, v80
	v_pk_fma_f32 v[80:81], v[94:95], v[86:87], v[102:103] op_sel_hi:[0,1,0]
	v_add_f32_e32 v81, v82, v81
	v_add_f32_e32 v80, v80, v81
	ds_bpermute_b32 v81, v60, v80
	s_waitcnt lgkmcnt(0)
	v_add_f32_e32 v80, v80, v81
	ds_bpermute_b32 v81, v61, v80
	s_waitcnt lgkmcnt(0)
	v_add_f32_e32 v80, v80, v81
	v_cmp_nlt_f32_e64 s[18:19], |v80|, s17
                                        ; implicit-def: $vgpr81
	s_and_saveexec_b64 s[38:39], s[18:19]
	s_xor_b64 s[18:19], exec, s[38:39]
	s_cbranch_execz .LBB18_25
; %bb.24:                               ;   in Loop: Header=BB18_11 Depth=1
	v_add_f32_e64 v81, |v80|, |v80|
	v_mul_f32_e32 v82, 0x3fb8aa3b, v81
	v_rndne_f32_e32 v83, v82
	v_sub_f32_e32 v84, v82, v83
	v_fma_f32 v82, v81, s20, -v82
	v_fmac_f32_e32 v82, 0x32a5705f, v81
	v_add_f32_e32 v82, v84, v82
	v_cvt_i32_f32_e32 v83, v83
	v_exp_f32_e32 v82, v82
	v_cmp_ngt_f32_e32 vcc, s21, v81
	v_ldexp_f32 v82, v82, v83
	s_nop 0
	v_cndmask_b32_e32 v82, 0, v82, vcc
	v_cmp_nlt_f32_e32 vcc, s36, v81
	s_nop 1
	v_cndmask_b32_e32 v81, v68, v82, vcc
	v_add_f32_e32 v81, 1.0, v81
	v_rcp_f32_e32 v81, v81
	s_nop 0
	v_fma_f32 v81, v81, -2.0, 1.0
.LBB18_25:                              ;   in Loop: Header=BB18_11 Depth=1
	s_andn2_saveexec_b64 s[18:19], s[18:19]
; %bb.26:                               ;   in Loop: Header=BB18_11 Depth=1
	v_mul_f32_e32 v81, v80, v80
	v_fmamk_f32 v82, v81, 0xbbbac73d, v67
	v_fmaak_f32 v82, v81, v82, 0xbd5c1c4e
	v_fmaak_f32 v82, v81, v82, 0x3e088382
	;; [unrolled: 1-line block ×3, first 2 shown]
	v_mul_f32_e64 v82, |v80|, v82
	v_fma_f32 v81, v81, v82, |v80|
; %bb.27:                               ;   in Loop: Header=BB18_11 Depth=1
	s_or_b64 exec, exec, s[18:19]
	v_bfi_b32 v80, s37, v81, v80
	s_and_b64 vcc, exec, s[12:13]
	v_mul_f32_e32 v80, s45, v80
	s_cbranch_vccnz .LBB18_29
; %bb.28:                               ;   in Loop: Header=BB18_11 Depth=1
	global_load_ushort v81, v[18:19], off offset:-2
	s_waitcnt vmcnt(0)
	v_fma_mix_f32 v80, v59, v81, v80 op_sel_hi:[0,1,0]
.LBB18_29:                              ;   in Loop: Header=BB18_11 Depth=1
	v_lshl_add_u64 v[84:85], v[16:17], 0, s[46:47]
	v_lshl_add_u64 v[82:83], v[20:21], 0, s[46:47]
	global_load_dword v81, v[84:85], off offset:4
	global_load_dword v86, v[82:83], off
	global_load_dword v87, v[84:85], off offset:24
	global_load_dword v88, v[82:83], off offset:20
	;; [unrolled: 1-line block ×6, first 2 shown]
	v_mov_b32_e32 v82, 0
	v_mov_b32_e32 v84, 0
	;; [unrolled: 1-line block ×8, first 2 shown]
	s_waitcnt vmcnt(7)
	v_and_b32_e32 v83, 0xf0f0f0f, v81
	v_lshrrev_b32_e32 v81, 4, v81
	s_waitcnt vmcnt(6)
	v_cvt_f32_f16_sdwa v99, v86 dst_sel:DWORD dst_unused:UNUSED_PAD src0_sel:WORD_1
	v_and_b32_e32 v81, 0xf0f0f0f, v81
	v_cvt_f32_f16_e32 v98, v86
	s_waitcnt vmcnt(5)
	v_and_b32_e32 v86, 0xf0f0f0f, v87
	s_waitcnt vmcnt(4)
	v_cvt_f32_f16_sdwa v101, v88 dst_sel:DWORD dst_unused:UNUSED_PAD src0_sel:WORD_1
	v_lshrrev_b32_e32 v87, 4, v87
	v_dot4c_i32_i8_e32 v82, v83, v8
	v_dot4c_i32_i8_e32 v84, v81, v9
	;; [unrolled: 1-line block ×3, first 2 shown]
	v_and_b32_e32 v86, 0xf0f0f0f, v87
	v_cvt_f32_i32_e32 v83, v82
	v_cvt_f32_i32_e32 v82, v84
	v_cvt_f32_f16_e32 v100, v88
	s_waitcnt vmcnt(3)
	v_and_b32_e32 v88, 0xf0f0f0f, v89
	s_waitcnt vmcnt(2)
	v_cvt_f32_f16_sdwa v103, v90 dst_sel:DWORD dst_unused:UNUSED_PAD src0_sel:WORD_1
	v_lshrrev_b32_e32 v89, 4, v89
	v_dot4c_i32_i8_e32 v93, v86, v11
	v_cvt_f32_f16_e32 v102, v90
	s_waitcnt vmcnt(1)
	v_and_b32_e32 v90, 0xf0f0f0f, v91
	v_lshrrev_b32_e32 v91, 4, v91
	v_and_b32_e32 v87, 0xf0f0f0f, v89
	v_cvt_f32_i32_e32 v85, v85
	v_cvt_f32_i32_e32 v84, v93
	v_mul_f32_e32 v81, v1, v99
	s_waitcnt vmcnt(0)
	v_cvt_f32_f16_sdwa v105, v92 dst_sel:DWORD dst_unused:UNUSED_PAD src0_sel:WORD_1
	v_dot4c_i32_i8_e32 v94, v88, v12
	v_dot4c_i32_i8_e32 v96, v90, v14
	v_and_b32_e32 v88, 0xf0f0f0f, v91
	v_dot4c_i32_i8_e32 v95, v87, v13
	v_mul_f32_e32 v90, v0, v98
	v_mul_f32_e32 v91, v3, v101
	;; [unrolled: 1-line block ×3, first 2 shown]
	v_cvt_f32_i32_e32 v87, v94
	v_cvt_f32_i32_e32 v86, v95
	v_pk_fma_f32 v[82:83], v[90:91], v[82:83], v[98:99] op_sel_hi:[0,1,0]
	v_cvt_f32_f16_e32 v104, v92
	v_dot4c_i32_i8_e32 v97, v88, v15
	v_mul_f32_e32 v92, v2, v100
	v_mul_f32_e32 v93, v5, v103
	;; [unrolled: 1-line block ×3, first 2 shown]
	v_add_f32_e32 v81, 0, v83
	v_cvt_f32_i32_e32 v89, v96
	v_cvt_f32_i32_e32 v88, v97
	v_pk_fma_f32 v[84:85], v[92:93], v[84:85], v[100:101] op_sel_hi:[0,1,0]
	v_add_f32_e32 v81, v82, v81
	v_mul_f32_e32 v94, v4, v102
	v_mul_f32_e32 v95, v7, v105
	;; [unrolled: 1-line block ×3, first 2 shown]
	v_add_f32_e32 v81, v81, v85
	v_pk_fma_f32 v[86:87], v[94:95], v[86:87], v[102:103] op_sel_hi:[0,1,0]
	v_add_f32_e32 v81, v84, v81
	v_mul_f32_e32 v96, v6, v104
	v_mul_f32_e32 v104, 0x3e000000, v95
	v_add_f32_e32 v81, v81, v87
	v_add_f32_e32 v81, v86, v81
	v_pk_fma_f32 v[82:83], v[96:97], v[88:89], v[104:105] op_sel_hi:[0,1,0]
	v_add_f32_e32 v81, v81, v83
	v_add_f32_e32 v81, v82, v81
	ds_bpermute_b32 v82, v60, v81
	s_waitcnt lgkmcnt(0)
	v_add_f32_e32 v81, v81, v82
	ds_bpermute_b32 v82, v61, v81
	s_waitcnt lgkmcnt(0)
	v_add_f32_e32 v81, v81, v82
	v_cmp_nlt_f32_e64 s[18:19], |v81|, s17
                                        ; implicit-def: $vgpr82
	s_and_saveexec_b64 s[38:39], s[18:19]
	s_xor_b64 s[18:19], exec, s[38:39]
	s_cbranch_execz .LBB18_31
; %bb.30:                               ;   in Loop: Header=BB18_11 Depth=1
	v_add_f32_e64 v82, |v81|, |v81|
	v_mul_f32_e32 v83, 0x3fb8aa3b, v82
	v_rndne_f32_e32 v84, v83
	v_sub_f32_e32 v85, v83, v84
	v_fma_f32 v83, v82, s20, -v83
	v_fmac_f32_e32 v83, 0x32a5705f, v82
	v_add_f32_e32 v83, v85, v83
	v_cvt_i32_f32_e32 v84, v84
	v_exp_f32_e32 v83, v83
	v_cmp_ngt_f32_e32 vcc, s21, v82
	v_ldexp_f32 v83, v83, v84
	s_nop 0
	v_cndmask_b32_e32 v83, 0, v83, vcc
	v_cmp_nlt_f32_e32 vcc, s36, v82
	s_nop 1
	v_cndmask_b32_e32 v82, v68, v83, vcc
	v_add_f32_e32 v82, 1.0, v82
	v_rcp_f32_e32 v82, v82
	s_nop 0
	v_fma_f32 v82, v82, -2.0, 1.0
.LBB18_31:                              ;   in Loop: Header=BB18_11 Depth=1
	s_andn2_saveexec_b64 s[18:19], s[18:19]
; %bb.32:                               ;   in Loop: Header=BB18_11 Depth=1
	v_mul_f32_e32 v82, v81, v81
	v_fmamk_f32 v83, v82, 0xbbbac73d, v67
	v_fmaak_f32 v83, v82, v83, 0xbd5c1c4e
	v_fmaak_f32 v83, v82, v83, 0x3e088382
	;; [unrolled: 1-line block ×3, first 2 shown]
	v_mul_f32_e64 v83, |v81|, v83
	v_fma_f32 v82, v82, v83, |v81|
; %bb.33:                               ;   in Loop: Header=BB18_11 Depth=1
	s_or_b64 exec, exec, s[18:19]
	v_bfi_b32 v81, s37, v82, v81
	s_and_b64 vcc, exec, s[12:13]
	v_mul_f32_e32 v81, s45, v81
	s_cbranch_vccnz .LBB18_35
; %bb.34:                               ;   in Loop: Header=BB18_11 Depth=1
	global_load_ushort v82, v[18:19], off
	s_waitcnt vmcnt(0)
	v_fma_mix_f32 v81, v59, v82, v81 op_sel_hi:[0,1,0]
.LBB18_35:                              ;   in Loop: Header=BB18_11 Depth=1
	v_add_f32_e32 v88, 0x40051340, v78
	v_add_f32_e32 v89, 0x40051340, v79
	v_max3_f32 v88, v77, v88, v89
	v_add_f32_e32 v89, 0x40051340, v80
	v_add_f32_e32 v90, 0x40051340, v81
	v_max3_f32 v88, v88, v89, v90
	ds_bpermute_b32 v89, v62, v88
	v_cndmask_b32_e64 v69, v69, v78, s[6:7]
	v_cndmask_b32_e64 v69, v69, v79, s[8:9]
	;; [unrolled: 1-line block ×4, first 2 shown]
	s_waitcnt lgkmcnt(0)
	v_max_f32_e32 v89, v89, v89
	v_max_f32_e32 v90, v88, v89
	ds_bpermute_b32 v91, v63, v90
	v_lshl_add_u64 v[86:87], v[24:25], 0, s[26:27]
	global_load_dwordx4 v[82:85], v[86:87], off
	v_lshl_add_u64 v[94:95], v[36:37], 0, s[26:27]
	global_load_dwordx4 v[86:89], v[86:87], off offset:128
	s_waitcnt lgkmcnt(0)
	v_max_f32_e32 v78, v91, v91
	v_max_f32_e32 v78, v90, v78
	ds_bpermute_b32 v96, v64, v78
	global_load_dwordx4 v[90:93], v[94:95], off
	s_add_i32 s16, s16, s50
	v_lshl_add_u64 v[16:17], v[16:17], 0, s[52:53]
	v_lshl_add_u64 v[18:19], v[18:19], 0, s[22:23]
	s_waitcnt lgkmcnt(0)
	v_max_f32_e32 v79, v96, v96
	v_max_f32_e32 v78, v78, v79
	v_sub_f32_e32 v77, v77, v78
	v_sub_f32_e32 v69, v69, v78
	v_mul_f32_e32 v79, 0x3fb8aa3b, v77
	v_mul_f32_e32 v80, 0x3fb8aa3b, v69
	v_fma_f32 v81, v77, s20, -v79
	v_rndne_f32_e32 v96, v79
	v_fma_f32 v97, v69, s20, -v80
	v_rndne_f32_e32 v98, v80
	v_fmac_f32_e32 v81, 0x32a5705f, v77
	v_sub_f32_e32 v79, v79, v96
	v_fmac_f32_e32 v97, 0x32a5705f, v69
	v_sub_f32_e32 v80, v80, v98
	v_add_f32_e32 v79, v79, v81
	v_cvt_i32_f32_e32 v99, v96
	v_add_f32_e32 v80, v80, v97
	v_exp_f32_e32 v79, v79
	v_cvt_i32_f32_e32 v98, v98
	v_exp_f32_e32 v100, v80
	v_cmp_ngt_f32_e32 vcc, s21, v77
	v_ldexp_f32 v79, v79, v99
	global_load_dwordx4 v[94:97], v[94:95], off offset:128
	v_ldexp_f32 v98, v100, v98
	v_cndmask_b32_e32 v79, 0, v79, vcc
	v_cmp_ngt_f32_e32 vcc, s21, v69
	v_lshl_add_u64 v[80:81], v[40:41], 0, s[26:27]
	v_lshl_add_u64 v[20:21], v[20:21], 0, s[52:53]
	v_cndmask_b32_e32 v98, 0, v98, vcc
	v_cmp_nlt_f32_e32 vcc, s36, v77
	v_lshl_add_u64 v[22:23], v[22:23], 0, s[52:53]
	v_lshl_add_u64 v[24:25], v[24:25], 0, s[54:55]
	v_cndmask_b32_e32 v77, v68, v79, vcc
	v_cmp_nlt_f32_e32 vcc, s36, v69
	v_cvt_f16_f32_e32 v79, v77
	v_lshl_add_u64 v[26:27], v[26:27], 0, s[52:53]
	v_cndmask_b32_e32 v69, v68, v98, vcc
	global_load_dwordx4 v[98:101], v[80:81], off
	v_cvt_f16_f32_e32 v102, v69
	v_fma_f32 v50, v50, v77, v69
	v_mul_u32_u24_e32 v77, 0x10001, v79
	v_pk_mul_f16 v79, v70, v77
	ds_write_b16 v57, v102
	ds_read_u16 v70, v65
	ds_read_u16 v108, v65 offset:32
	ds_read_u16 v109, v66 offset:8
	;; [unrolled: 1-line block ×7, first 2 shown]
	v_pk_mul_f16 v103, v71, v77
	s_waitcnt lgkmcnt(7)
	v_mul_u32_u24_e32 v115, 0x10001, v70
	v_pk_mul_f16 v102, v73, v77
	v_pk_mul_f16 v104, v72, v77
	;; [unrolled: 1-line block ×6, first 2 shown]
	v_lshl_add_u64 v[28:29], v[28:29], 0, s[52:53]
	v_lshl_add_u64 v[30:31], v[30:31], 0, s[52:53]
	;; [unrolled: 1-line block ×6, first 2 shown]
	s_cmp_ge_i32 s16, s42
	s_waitcnt vmcnt(4)
	v_lshlrev_b32_e32 v70, 16, v82
	v_and_b32_e32 v71, 0xffff0000, v82
	v_lshlrev_b32_e32 v74, 16, v83
	v_and_b32_e32 v75, 0xffff0000, v83
	;; [unrolled: 2-line block ×4, first 2 shown]
	v_cvt_pk_f16_f32 v84, v70, v71
	global_load_dwordx4 v[70:73], v[80:81], off offset:128
	v_cvt_pk_f16_f32 v74, v74, v75
	v_cvt_pk_f16_f32 v75, v76, v77
	;; [unrolled: 1-line block ×3, first 2 shown]
	v_pk_fma_f16 v79, v84, v115, v79
	v_pk_fma_f16 v84, v74, v115, v102
	;; [unrolled: 1-line block ×4, first 2 shown]
	s_waitcnt vmcnt(4)
	v_lshlrev_b32_e32 v74, 16, v86
	v_and_b32_e32 v75, 0xffff0000, v86
	v_lshlrev_b32_e32 v76, 16, v87
	v_and_b32_e32 v77, 0xffff0000, v87
	;; [unrolled: 2-line block ×4, first 2 shown]
	v_lshl_add_u64 v[80:81], v[44:45], 0, s[26:27]
	v_cvt_pk_f16_f32 v88, v74, v75
	v_cvt_pk_f16_f32 v89, v76, v77
	global_load_dwordx4 v[74:77], v[80:81], off
	v_cvt_pk_f16_f32 v82, v82, v83
	v_cvt_pk_f16_f32 v83, v86, v87
	v_pk_fma_f16 v103, v88, v115, v105
	v_pk_fma_f16 v104, v89, v115, v106
	;; [unrolled: 1-line block ×4, first 2 shown]
	s_waitcnt vmcnt(4)
	v_lshlrev_b32_e32 v82, 16, v90
	v_and_b32_e32 v83, 0xffff0000, v90
	v_lshlrev_b32_e32 v86, 16, v91
	v_and_b32_e32 v87, 0xffff0000, v91
	v_lshlrev_b32_e32 v88, 16, v92
	v_and_b32_e32 v89, 0xffff0000, v92
	s_waitcnt lgkmcnt(5)
	v_mul_u32_u24_e32 v106, 0x10001, v109
	v_lshlrev_b32_e32 v90, 16, v93
	v_and_b32_e32 v91, 0xffff0000, v93
	v_cvt_pk_f16_f32 v92, v82, v83
	v_cvt_pk_f16_f32 v86, v86, v87
	;; [unrolled: 1-line block ×3, first 2 shown]
	global_load_dwordx4 v[80:83], v[80:81], off offset:128
	v_cvt_pk_f16_f32 v88, v90, v91
	v_pk_fma_f16 v79, v92, v106, v79
	v_pk_fma_f16 v92, v86, v106, v84
	;; [unrolled: 1-line block ×3, first 2 shown]
	s_waitcnt vmcnt(4)
	v_lshlrev_b32_e32 v84, 16, v94
	v_and_b32_e32 v85, 0xffff0000, v94
	v_lshlrev_b32_e32 v86, 16, v95
	v_and_b32_e32 v87, 0xffff0000, v95
	;; [unrolled: 2-line block ×4, first 2 shown]
	v_pk_fma_f16 v102, v88, v106, v102
	v_cvt_pk_f16_f32 v96, v84, v85
	v_lshl_add_u64 v[88:89], v[48:49], 0, s[26:27]
	v_cvt_pk_f16_f32 v90, v90, v91
	v_cvt_pk_f16_f32 v91, v94, v95
	;; [unrolled: 1-line block ×3, first 2 shown]
	global_load_dwordx4 v[84:87], v[88:89], off
	v_pk_fma_f16 v94, v96, v106, v103
	v_pk_fma_f16 v96, v90, v106, v105
	;; [unrolled: 1-line block ×3, first 2 shown]
	s_waitcnt vmcnt(4)
	v_lshlrev_b32_e32 v90, 16, v98
	v_and_b32_e32 v91, 0xffff0000, v98
	v_cvt_pk_f16_f32 v105, v90, v91
	global_load_dwordx4 v[88:91], v[88:89], off offset:128
	v_lshlrev_b32_e32 v98, 16, v99
	v_and_b32_e32 v99, 0xffff0000, v99
	v_lshlrev_b32_e32 v103, 16, v100
	v_and_b32_e32 v100, 0xffff0000, v100
	v_pk_fma_f16 v95, v97, v106, v104
	s_waitcnt lgkmcnt(4)
	v_mul_u32_u24_e32 v97, 0x10001, v110
	v_lshlrev_b32_e32 v104, 16, v101
	v_and_b32_e32 v101, 0xffff0000, v101
	v_cvt_pk_f16_f32 v98, v98, v99
	v_cvt_pk_f16_f32 v99, v103, v100
	;; [unrolled: 1-line block ×3, first 2 shown]
	v_pk_fma_f16 v98, v98, v97, v92
	v_pk_fma_f16 v99, v99, v97, v93
	;; [unrolled: 1-line block ×4, first 2 shown]
	s_waitcnt vmcnt(4)
	v_lshlrev_b32_e32 v92, 16, v70
	v_and_b32_e32 v70, 0xffff0000, v70
	v_lshlrev_b32_e32 v93, 16, v71
	v_and_b32_e32 v71, 0xffff0000, v71
	;; [unrolled: 2-line block ×4, first 2 shown]
	v_cvt_pk_f16_f32 v105, v92, v70
	v_cvt_pk_f16_f32 v106, v93, v71
	v_lshl_add_u64 v[92:93], v[46:47], 0, s[26:27]
	global_load_dwordx4 v[70:73], v[92:93], off
	v_cvt_pk_f16_f32 v101, v101, v102
	v_cvt_pk_f16_f32 v102, v103, v104
	v_pk_fma_f16 v94, v105, v97, v94
	v_pk_fma_f16 v96, v101, v97, v96
	;; [unrolled: 1-line block ×4, first 2 shown]
	s_waitcnt lgkmcnt(3)
	v_mul_u32_u24_e32 v97, 0x10001, v111
	s_waitcnt vmcnt(4)
	v_lshlrev_b32_e32 v101, 16, v74
	v_and_b32_e32 v74, 0xffff0000, v74
	v_lshlrev_b32_e32 v102, 16, v75
	v_and_b32_e32 v103, 0xffff0000, v75
	;; [unrolled: 2-line block ×4, first 2 shown]
	v_cvt_pk_f16_f32 v101, v101, v74
	global_load_dwordx4 v[74:77], v[92:93], off offset:128
	v_cvt_pk_f16_f32 v92, v102, v103
	v_cvt_pk_f16_f32 v93, v104, v105
	;; [unrolled: 1-line block ×3, first 2 shown]
	v_pk_fma_f16 v98, v92, v97, v98
	v_pk_fma_f16 v99, v93, v97, v99
	v_lshl_add_u64 v[92:93], v[42:43], 0, s[26:27]
	v_pk_fma_f16 v79, v101, v97, v79
	v_pk_fma_f16 v100, v102, v97, v100
	v_lshl_add_u64 v[42:43], v[42:43], 0, s[54:55]
	s_waitcnt vmcnt(4)
	v_lshlrev_b32_e32 v101, 16, v80
	v_and_b32_e32 v102, 0xffff0000, v80
	v_lshlrev_b32_e32 v103, 16, v81
	v_and_b32_e32 v104, 0xffff0000, v81
	;; [unrolled: 2-line block ×4, first 2 shown]
	global_load_dwordx4 v[80:83], v[92:93], off
	v_cvt_pk_f16_f32 v101, v101, v102
	v_cvt_pk_f16_f32 v102, v103, v104
	;; [unrolled: 1-line block ×4, first 2 shown]
	v_pk_fma_f16 v101, v101, v97, v94
	v_pk_fma_f16 v102, v102, v97, v95
	;; [unrolled: 1-line block ×4, first 2 shown]
	global_load_dwordx4 v[92:95], v[92:93], off offset:128
	v_mul_u32_u24_e32 v97, 0x10001, v108
	s_waitcnt vmcnt(5)
	v_lshlrev_b32_e32 v103, 16, v84
	v_and_b32_e32 v84, 0xffff0000, v84
	v_lshlrev_b32_e32 v104, 16, v85
	v_and_b32_e32 v85, 0xffff0000, v85
	;; [unrolled: 2-line block ×4, first 2 shown]
	v_cvt_pk_f16_f32 v84, v103, v84
	v_cvt_pk_f16_f32 v85, v104, v85
	;; [unrolled: 1-line block ×4, first 2 shown]
	s_waitcnt vmcnt(4)
	v_lshlrev_b32_e32 v103, 16, v88
	v_and_b32_e32 v104, 0xffff0000, v88
	v_lshlrev_b32_e32 v105, 16, v89
	v_and_b32_e32 v106, 0xffff0000, v89
	v_lshl_add_u64 v[88:89], v[38:39], 0, s[26:27]
	v_pk_fma_f16 v79, v84, v97, v79
	v_pk_fma_f16 v98, v85, v97, v98
	;; [unrolled: 1-line block ×4, first 2 shown]
	v_lshlrev_b32_e32 v107, 16, v90
	global_load_dwordx4 v[84:87], v[88:89], off
	v_and_b32_e32 v90, 0xffff0000, v90
	v_lshlrev_b32_e32 v108, 16, v91
	v_and_b32_e32 v91, 0xffff0000, v91
	v_cvt_pk_f16_f32 v90, v107, v90
	v_cvt_pk_f16_f32 v91, v108, v91
	v_pk_fma_f16 v96, v90, v97, v96
	v_pk_fma_f16 v51, v91, v97, v51
	global_load_dwordx4 v[88:91], v[88:89], off offset:128
	v_cvt_pk_f16_f32 v103, v103, v104
	v_cvt_pk_f16_f32 v104, v105, v106
	v_pk_fma_f16 v101, v103, v97, v101
	v_pk_fma_f16 v102, v104, v97, v102
	s_waitcnt vmcnt(5)
	v_lshlrev_b32_e32 v103, 16, v70
	v_and_b32_e32 v70, 0xffff0000, v70
	v_lshlrev_b32_e32 v104, 16, v71
	v_and_b32_e32 v71, 0xffff0000, v71
	;; [unrolled: 2-line block ×4, first 2 shown]
	s_waitcnt lgkmcnt(2)
	v_mul_u32_u24_e32 v97, 0x10001, v112
	v_cvt_pk_f16_f32 v70, v103, v70
	v_cvt_pk_f16_f32 v71, v104, v71
	;; [unrolled: 1-line block ×4, first 2 shown]
	v_pk_fma_f16 v70, v70, v97, v79
	v_pk_fma_f16 v71, v71, v97, v98
	;; [unrolled: 1-line block ×4, first 2 shown]
	s_waitcnt vmcnt(4)
	v_lshlrev_b32_e32 v79, 16, v74
	v_and_b32_e32 v74, 0xffff0000, v74
	v_lshlrev_b32_e32 v98, 16, v75
	v_and_b32_e32 v75, 0xffff0000, v75
	;; [unrolled: 2-line block ×4, first 2 shown]
	v_cvt_pk_f16_f32 v74, v79, v74
	v_cvt_pk_f16_f32 v75, v98, v75
	v_cvt_pk_f16_f32 v76, v99, v76
	v_cvt_pk_f16_f32 v77, v100, v77
	v_pk_fma_f16 v74, v74, v97, v101
	v_pk_fma_f16 v75, v75, v97, v102
	;; [unrolled: 1-line block ×4, first 2 shown]
	s_waitcnt lgkmcnt(1)
	v_mul_u32_u24_e32 v77, 0x10001, v113
	s_waitcnt vmcnt(3)
	v_lshlrev_b32_e32 v79, 16, v80
	v_and_b32_e32 v80, 0xffff0000, v80
	v_lshlrev_b32_e32 v96, 16, v81
	v_and_b32_e32 v81, 0xffff0000, v81
	v_lshlrev_b32_e32 v97, 16, v82
	v_and_b32_e32 v82, 0xffff0000, v82
	v_lshlrev_b32_e32 v98, 16, v83
	v_and_b32_e32 v83, 0xffff0000, v83
	v_cvt_pk_f16_f32 v79, v79, v80
	v_cvt_pk_f16_f32 v80, v96, v81
	;; [unrolled: 1-line block ×4, first 2 shown]
	v_pk_fma_f16 v70, v79, v77, v70
	v_pk_fma_f16 v71, v80, v77, v71
	;; [unrolled: 1-line block ×4, first 2 shown]
	s_waitcnt vmcnt(2)
	v_lshlrev_b32_e32 v73, 16, v92
	v_and_b32_e32 v80, 0xffff0000, v92
	v_lshlrev_b32_e32 v81, 16, v93
	v_and_b32_e32 v82, 0xffff0000, v93
	;; [unrolled: 2-line block ×4, first 2 shown]
	v_cvt_pk_f16_f32 v73, v73, v80
	v_cvt_pk_f16_f32 v80, v81, v82
	;; [unrolled: 1-line block ×4, first 2 shown]
	v_pk_fma_f16 v74, v73, v77, v74
	v_pk_fma_f16 v75, v80, v77, v75
	;; [unrolled: 1-line block ×4, first 2 shown]
	s_waitcnt lgkmcnt(0)
	v_mul_u32_u24_e32 v77, 0x10001, v114
	s_waitcnt vmcnt(1)
	v_lshlrev_b32_e32 v73, 16, v84
	v_and_b32_e32 v76, 0xffff0000, v84
	v_lshlrev_b32_e32 v81, 16, v85
	v_and_b32_e32 v82, 0xffff0000, v85
	;; [unrolled: 2-line block ×4, first 2 shown]
	v_cvt_pk_f16_f32 v73, v73, v76
	v_cvt_pk_f16_f32 v76, v81, v82
	;; [unrolled: 1-line block ×4, first 2 shown]
	v_pk_fma_f16 v70, v73, v77, v70
	v_pk_fma_f16 v73, v76, v77, v71
	;; [unrolled: 1-line block ×4, first 2 shown]
	s_waitcnt vmcnt(0)
	v_lshlrev_b32_e32 v76, 16, v88
	v_and_b32_e32 v79, 0xffff0000, v88
	v_lshlrev_b32_e32 v81, 16, v89
	v_and_b32_e32 v82, 0xffff0000, v89
	;; [unrolled: 2-line block ×4, first 2 shown]
	v_cvt_pk_f16_f32 v76, v76, v79
	v_cvt_pk_f16_f32 v79, v81, v82
	;; [unrolled: 1-line block ×4, first 2 shown]
	v_pk_fma_f16 v76, v76, v77, v74
	v_pk_fma_f16 v75, v79, v77, v75
	;; [unrolled: 1-line block ×4, first 2 shown]
	v_lshl_add_u64 v[38:39], v[38:39], 0, s[54:55]
	v_lshl_add_u64 v[44:45], v[44:45], 0, s[54:55]
	v_lshl_add_u64 v[46:47], v[46:47], 0, s[54:55]
	v_lshl_add_u64 v[48:49], v[48:49], 0, s[54:55]
	s_cbranch_scc1 .LBB18_38
; %bb.36:                               ;   in Loop: Header=BB18_11 Depth=1
	v_mov_b32_e32 v77, v78
	s_branch .LBB18_11
.LBB18_37:
	v_mov_b32_e32 v70, 0
	v_mov_b32_e32 v78, 0xfeffffff
	;; [unrolled: 1-line block ×9, first 2 shown]
.LBB18_38:
	s_cmp_lg_u64 s[24:25], 0
	v_or_b32_e32 v0, s3, v52
	s_cselect_b64 s[4:5], -1, 0
	v_cmp_eq_u32_e32 vcc, 0, v0
	s_and_b64 s[6:7], vcc, s[4:5]
	s_and_saveexec_b64 s[4:5], s[6:7]
	s_cbranch_execz .LBB18_40
; %bb.39:
	s_lshl_b64 s[6:7], s[40:41], 2
	s_add_u32 s6, s24, s6
	s_addc_u32 s7, s25, s7
	s_load_dword s6, s[6:7], 0x0
	v_max_f32_e32 v0, v78, v78
	s_mov_b32 s7, 0x3fb8aa3b
	s_mov_b32 s8, 0x42b17218
	s_waitcnt lgkmcnt(0)
	v_max_f32_e64 v1, s6, s6
	v_max_f32_e32 v0, v0, v1
	v_sub_f32_e32 v1, s6, v0
	v_mul_f32_e32 v2, 0x3fb8aa3b, v1
	v_fma_f32 v3, v1, s7, -v2
	v_rndne_f32_e32 v4, v2
	v_fmac_f32_e32 v3, 0x32a5705f, v1
	v_sub_f32_e32 v2, v2, v4
	v_add_f32_e32 v2, v2, v3
	v_cvt_i32_f32_e32 v3, v4
	v_exp_f32_e32 v2, v2
	s_mov_b32 s6, 0xc2ce8ed0
	v_cmp_ngt_f32_e32 vcc, s6, v1
	v_ldexp_f32 v2, v2, v3
	v_sub_f32_e32 v3, v78, v0
	v_mul_f32_e32 v4, 0x3fb8aa3b, v3
	v_fma_f32 v5, v3, s7, -v4
	v_rndne_f32_e32 v6, v4
	v_fmac_f32_e32 v5, 0x32a5705f, v3
	v_sub_f32_e32 v4, v4, v6
	v_add_f32_e32 v4, v4, v5
	v_exp_f32_e32 v4, v4
	v_cvt_i32_f32_e32 v5, v6
	v_cndmask_b32_e32 v2, 0, v2, vcc
	v_mov_b32_e32 v6, 0x7f800000
	v_cmp_nlt_f32_e32 vcc, s8, v1
	v_mov_b32_e32 v78, v0
	s_nop 0
	v_cndmask_b32_e32 v1, v6, v2, vcc
	v_ldexp_f32 v2, v4, v5
	v_cmp_ngt_f32_e32 vcc, s6, v3
	s_nop 1
	v_cndmask_b32_e32 v2, 0, v2, vcc
	v_cmp_nlt_f32_e32 vcc, s8, v3
	s_nop 1
	v_cndmask_b32_e32 v2, v6, v2, vcc
	v_cvt_f16_f32_e32 v3, v2
	v_cmp_eq_u32_e32 vcc, 0, v54
	s_nop 1
	v_cndmask_b32_e32 v1, 0, v1, vcc
	v_fmac_f32_e32 v1, v50, v2
	v_mul_u32_u24_e32 v2, 0x10001, v3
	v_pk_mul_f16 v70, v70, v2
	v_pk_mul_f16 v73, v73, v2
	;; [unrolled: 1-line block ×8, first 2 shown]
	v_mov_b32_e32 v50, v1
.LBB18_40:
	s_or_b64 exec, exec, s[4:5]
	s_and_saveexec_b64 s[4:5], s[14:15]
; %bb.41:
	v_mov_b32_e32 v0, 0xfeffffff
	v_mov_b32_e32 v1, 0
	v_add_u32_e32 v2, 0x1000, v58
	ds_write2_b32 v2, v0, v1 offset1:32
; %bb.42:
	s_or_b64 exec, exec, s[4:5]
	v_cmp_eq_u32_e32 vcc, 0, v54
	v_lshlrev_b32_e32 v6, 2, v52
	s_waitcnt lgkmcnt(0)
	s_barrier
	s_and_saveexec_b64 s[4:5], vcc
; %bb.43:
	ds_write_b32 v6, v78 offset:4096
; %bb.44:
	s_or_b64 exec, exec, s[4:5]
	v_mbcnt_hi_u32_b32 v0, -1, v55
	s_waitcnt lgkmcnt(0)
	s_barrier
	v_and_b32_e32 v1, 0x60, v0
	ds_read_b32 v3, v58 offset:4096
	v_add_u32_e32 v2, 32, v1
	v_xor_b32_e32 v1, 16, v0
	v_cmp_lt_i32_e64 s[4:5], v1, v2
	v_xor_b32_e32 v9, 1, v0
	s_nop 0
	v_cndmask_b32_e64 v1, v0, v1, s[4:5]
	v_lshlrev_b32_e32 v5, 2, v1
	s_waitcnt lgkmcnt(0)
	ds_bpermute_b32 v4, v5, v3
	v_xor_b32_e32 v1, 8, v0
	v_cmp_lt_i32_e64 s[4:5], v1, v2
	v_max_f32_e32 v3, v3, v3
	s_waitcnt lgkmcnt(0)
	v_max_f32_e32 v4, v4, v4
	v_cndmask_b32_e64 v1, v0, v1, s[4:5]
	v_lshlrev_b32_e32 v1, 2, v1
	v_max_f32_e32 v3, v3, v4
	ds_bpermute_b32 v7, v1, v3
	v_xor_b32_e32 v4, 4, v0
	v_cmp_lt_i32_e64 s[4:5], v4, v2
	s_waitcnt lgkmcnt(0)
	v_max_f32_e32 v7, v7, v7
	v_cndmask_b32_e64 v4, v0, v4, s[4:5]
	v_lshlrev_b32_e32 v4, 2, v4
	v_max_f32_e32 v7, v3, v7
	ds_bpermute_b32 v8, v4, v7
	v_xor_b32_e32 v3, 2, v0
	v_cmp_lt_i32_e64 s[4:5], v3, v2
	s_waitcnt lgkmcnt(0)
	v_max_f32_e32 v8, v8, v8
	v_cndmask_b32_e64 v3, v0, v3, s[4:5]
	v_lshlrev_b32_e32 v3, 2, v3
	v_max_f32_e32 v7, v7, v8
	ds_bpermute_b32 v8, v3, v7
	v_cmp_lt_i32_e64 s[4:5], v9, v2
	s_nop 1
	v_cndmask_b32_e64 v0, v0, v9, s[4:5]
	v_lshlrev_b32_e32 v2, 2, v0
	s_waitcnt lgkmcnt(0)
	v_max_f32_e32 v0, v8, v8
	v_max_f32_e32 v0, v7, v0
	ds_bpermute_b32 v7, v2, v0
	s_mov_b32 s4, 0x3fb8aa3b
	s_waitcnt lgkmcnt(0)
	v_max_f32_e32 v7, v7, v7
	v_max_f32_e32 v0, v0, v7
	v_sub_f32_e32 v7, v78, v0
	v_mul_f32_e32 v8, 0x3fb8aa3b, v7
	v_fma_f32 v9, v7, s4, -v8
	v_rndne_f32_e32 v10, v8
	v_fmamk_f32 v9, v7, 0x32a5705f, v9
	v_sub_f32_e32 v8, v8, v10
	v_add_f32_e32 v8, v8, v9
	v_exp_f32_e32 v8, v8
	v_cvt_i32_f32_e32 v9, v10
	s_mov_b32 s4, 0xc2ce8ed0
	v_cmp_ngt_f32_e64 s[4:5], s4, v7
	v_ldexp_f32 v8, v8, v9
	s_nop 0
	v_cndmask_b32_e64 v8, 0, v8, s[4:5]
	s_mov_b32 s4, 0x42b17218
	v_mov_b32_e32 v9, 0x7f800000
	v_cmp_nlt_f32_e64 s[4:5], s4, v7
	s_nop 1
	v_cndmask_b32_e64 v7, v9, v8, s[4:5]
	v_mul_f32_e32 v9, v50, v7
	ds_bpermute_b32 v9, v5, v9
	v_cvt_f16_f32_e32 v8, v7
	s_load_dword s4, s[0:1], 0xd4
	s_movk_i32 s0, 0x70
	s_waitcnt lgkmcnt(0)
	v_fmac_f32_e32 v9, v50, v7
	ds_bpermute_b32 v7, v1, v9
	v_mul_u32_u24_e32 v8, 0x10001, v8
	v_pk_mul_f16 v10, v70, v8
	v_pk_mul_f16 v11, v73, v8
	;; [unrolled: 1-line block ×3, first 2 shown]
	s_waitcnt lgkmcnt(0)
	v_add_f32_e32 v7, v9, v7
	ds_bpermute_b32 v9, v4, v7
	v_pk_mul_f16 v13, v72, v8
	v_pk_mul_f16 v14, v76, v8
	;; [unrolled: 1-line block ×4, first 2 shown]
	s_waitcnt lgkmcnt(0)
	v_add_f32_e32 v7, v7, v9
	ds_bpermute_b32 v9, v3, v7
	v_pk_mul_f16 v17, v51, v8
	v_lshlrev_b32_e32 v8, 5, v54
	v_and_b32_e32 v8, 0xf00, v8
	v_lshl_add_u32 v8, v52, 10, v8
	s_waitcnt lgkmcnt(0)
	v_add_f32_e32 v7, v7, v9
	v_and_or_b32 v18, v53, s0, v8
	ds_bpermute_b32 v8, v2, v7
	ds_write2_b32 v18, v11, v12 offset0:1 offset1:2
	ds_write2_b32 v18, v10, v13 offset1:3
	ds_write2_b32 v18, v15, v16 offset0:33 offset1:34
	ds_write2_b32 v18, v14, v17 offset0:32 offset1:35
	s_and_saveexec_b64 s[0:1], vcc
	s_cbranch_execz .LBB18_46
; %bb.45:
	s_waitcnt lgkmcnt(4)
	v_add_f32_e32 v7, v7, v8
	ds_write_b32 v6, v7 offset:4224
.LBB18_46:
	s_or_b64 exec, exec, s[0:1]
	s_waitcnt lgkmcnt(0)
	s_barrier
	ds_read_b32 v7, v58 offset:4224
	ds_read_u16 v6, v57
	ds_read_u16 v8, v57 offset:256
	ds_read_u16 v10, v57 offset:512
	;; [unrolled: 1-line block ×6, first 2 shown]
	s_waitcnt lgkmcnt(7)
	ds_bpermute_b32 v9, v5, v7
	s_waitcnt lgkmcnt(7)
	v_cvt_f32_f16_e32 v5, v6
	s_waitcnt lgkmcnt(6)
	v_cvt_f32_f16_e32 v6, v8
	;; [unrolled: 2-line block ×4, first 2 shown]
	v_add_f32_e32 v5, 0, v5
	v_add_f32_e32 v5, v5, v6
	s_waitcnt lgkmcnt(3)
	v_cvt_f32_f16_e32 v6, v12
	v_add_f32_e32 v5, v5, v8
	s_waitcnt lgkmcnt(2)
	v_cvt_f32_f16_e32 v8, v13
	;; [unrolled: 3-line block ×3, first 2 shown]
	ds_read_u16 v11, v57 offset:1792
	ds_read_u16 v12, v57 offset:2048
	;; [unrolled: 1-line block ×8, first 2 shown]
	s_waitcnt lgkmcnt(7)
	v_cvt_f32_f16_e32 v11, v11
	v_add_f32_e32 v5, v5, v6
	v_add_f32_e32 v5, v5, v8
	s_waitcnt lgkmcnt(6)
	v_cvt_f32_f16_e32 v6, v12
	v_add_f32_e32 v5, v5, v10
	s_waitcnt lgkmcnt(5)
	v_cvt_f32_f16_e32 v10, v13
	;; [unrolled: 3-line block ×3, first 2 shown]
	s_waitcnt lgkmcnt(3)
	v_cvt_f32_f16_e32 v8, v15
	v_add_f32_e32 v5, v5, v6
	v_add_f32_e32 v5, v5, v10
	;; [unrolled: 1-line block ×3, first 2 shown]
	v_pk_add_f32 v[6:7], v[6:7], v[8:9]
	ds_bpermute_b32 v9, v1, v7
	s_waitcnt lgkmcnt(3)
	v_cvt_f32_f16_e32 v8, v16
	ds_read_u16 v1, v57 offset:3840
	s_mul_i32 s0, s33, s34
	s_add_i32 s0, s0, s2
	s_waitcnt lgkmcnt(1)
	v_pk_add_f32 v[6:7], v[6:7], v[8:9]
	ds_bpermute_b32 v5, v4, v7
	v_cvt_f32_f16_e32 v4, v17
	s_mul_i32 s0, s0, s35
	s_add_i32 s0, s0, s40
	s_mul_i32 s0, s4, s0
	s_waitcnt lgkmcnt(0)
	v_pk_add_f32 v[4:5], v[6:7], v[4:5]
	ds_bpermute_b32 v7, v3, v5
	v_cvt_f32_f16_e32 v6, v18
	s_add_i32 s0, s0, s3
	v_mov_b32_e32 v10, s28
	v_mov_b32_e32 v11, s29
	s_waitcnt lgkmcnt(0)
	v_pk_add_f32 v[4:5], v[4:5], v[6:7]
	ds_bpermute_b32 v7, v2, v5
	v_cvt_f32_f16_e32 v6, v1
	v_lshl_or_b32 v2, s0, 7, v56
	v_mov_b32_e32 v3, 0
	s_cmp_eq_u32 s4, 1
	s_waitcnt lgkmcnt(0)
	v_pk_add_f32 v[4:5], v[4:5], v[6:7]
	v_lshl_add_u64 v[6:7], v[2:3], 2, v[10:11]
	v_div_scale_f32 v1, s[2:3], v5, v5, v4
	v_rcp_f32_e32 v8, v1
	s_nop 0
	v_fma_f32 v2, -v1, v8, 1.0
	v_fmac_f32_e32 v8, v2, v8
	v_div_scale_f32 v2, vcc, v4, v5, v4
	v_mul_f32_e32 v9, v2, v8
	v_fma_f32 v10, -v1, v9, v2
	v_fmac_f32_e32 v9, v10, v8
	v_fma_f32 v1, -v1, v9, v2
	v_div_fmas_f32 v1, v1, v8, v9
	v_div_fixup_f32 v1, v1, v5, v4
	s_cselect_b64 vcc, -1, 0
	s_cmp_lg_u32 s4, 1
	v_cndmask_b32_e32 v1, v4, v1, vcc
	s_cselect_b64 s[2:3], -1, 0
	v_cmp_eq_u32_e32 vcc, 0, v56
	s_and_b64 s[2:3], vcc, s[2:3]
	global_store_dword v[6:7], v1, off
	s_and_saveexec_b64 s[4:5], s[2:3]
	s_cbranch_execz .LBB18_48
; %bb.47:
	s_mov_b32 s1, 0
	s_lshl_b64 s[0:1], s[0:1], 3
	s_add_u32 s0, s30, s0
	s_addc_u32 s1, s31, s1
	v_mov_b32_e32 v1, v5
	global_store_dwordx2 v3, v[0:1], s[0:1]
.LBB18_48:
	s_endpgm
	.section	.rodata,"a",@progbits
	.p2align	6, 0x0
	.amdhsa_kernel _ZL18flash_attn_ext_vecILi128ELi1EL9ggml_type3ELS0_30ELb1EEvPKcS2_S2_S2_S2_PKiPfP15HIP_vector_typeIfLj2EEffffjfiS6_IjLj3EEiiiiiiiiiiiliiliiiiil
		.amdhsa_group_segment_fixed_size 4352
		.amdhsa_private_segment_fixed_size 0
		.amdhsa_kernarg_size 464
		.amdhsa_user_sgpr_count 2
		.amdhsa_user_sgpr_dispatch_ptr 0
		.amdhsa_user_sgpr_queue_ptr 0
		.amdhsa_user_sgpr_kernarg_segment_ptr 1
		.amdhsa_user_sgpr_dispatch_id 0
		.amdhsa_user_sgpr_kernarg_preload_length 0
		.amdhsa_user_sgpr_kernarg_preload_offset 0
		.amdhsa_user_sgpr_private_segment_size 0
		.amdhsa_uses_dynamic_stack 0
		.amdhsa_enable_private_segment 0
		.amdhsa_system_sgpr_workgroup_id_x 1
		.amdhsa_system_sgpr_workgroup_id_y 1
		.amdhsa_system_sgpr_workgroup_id_z 1
		.amdhsa_system_sgpr_workgroup_info 0
		.amdhsa_system_vgpr_workitem_id 1
		.amdhsa_next_free_vgpr 116
		.amdhsa_next_free_sgpr 68
		.amdhsa_accum_offset 116
		.amdhsa_reserve_vcc 1
		.amdhsa_float_round_mode_32 0
		.amdhsa_float_round_mode_16_64 0
		.amdhsa_float_denorm_mode_32 3
		.amdhsa_float_denorm_mode_16_64 3
		.amdhsa_dx10_clamp 1
		.amdhsa_ieee_mode 1
		.amdhsa_fp16_overflow 0
		.amdhsa_tg_split 0
		.amdhsa_exception_fp_ieee_invalid_op 0
		.amdhsa_exception_fp_denorm_src 0
		.amdhsa_exception_fp_ieee_div_zero 0
		.amdhsa_exception_fp_ieee_overflow 0
		.amdhsa_exception_fp_ieee_underflow 0
		.amdhsa_exception_fp_ieee_inexact 0
		.amdhsa_exception_int_div_zero 0
	.end_amdhsa_kernel
	.section	.text._ZL18flash_attn_ext_vecILi128ELi1EL9ggml_type3ELS0_30ELb1EEvPKcS2_S2_S2_S2_PKiPfP15HIP_vector_typeIfLj2EEffffjfiS6_IjLj3EEiiiiiiiiiiiliiliiiiil,"axG",@progbits,_ZL18flash_attn_ext_vecILi128ELi1EL9ggml_type3ELS0_30ELb1EEvPKcS2_S2_S2_S2_PKiPfP15HIP_vector_typeIfLj2EEffffjfiS6_IjLj3EEiiiiiiiiiiiliiliiiiil,comdat
.Lfunc_end18:
	.size	_ZL18flash_attn_ext_vecILi128ELi1EL9ggml_type3ELS0_30ELb1EEvPKcS2_S2_S2_S2_PKiPfP15HIP_vector_typeIfLj2EEffffjfiS6_IjLj3EEiiiiiiiiiiiliiliiiiil, .Lfunc_end18-_ZL18flash_attn_ext_vecILi128ELi1EL9ggml_type3ELS0_30ELb1EEvPKcS2_S2_S2_S2_PKiPfP15HIP_vector_typeIfLj2EEffffjfiS6_IjLj3EEiiiiiiiiiiiliiliiiiil
                                        ; -- End function
	.set _ZL18flash_attn_ext_vecILi128ELi1EL9ggml_type3ELS0_30ELb1EEvPKcS2_S2_S2_S2_PKiPfP15HIP_vector_typeIfLj2EEffffjfiS6_IjLj3EEiiiiiiiiiiiliiliiiiil.num_vgpr, 116
	.set _ZL18flash_attn_ext_vecILi128ELi1EL9ggml_type3ELS0_30ELb1EEvPKcS2_S2_S2_S2_PKiPfP15HIP_vector_typeIfLj2EEffffjfiS6_IjLj3EEiiiiiiiiiiiliiliiiiil.num_agpr, 0
	.set _ZL18flash_attn_ext_vecILi128ELi1EL9ggml_type3ELS0_30ELb1EEvPKcS2_S2_S2_S2_PKiPfP15HIP_vector_typeIfLj2EEffffjfiS6_IjLj3EEiiiiiiiiiiiliiliiiiil.numbered_sgpr, 68
	.set _ZL18flash_attn_ext_vecILi128ELi1EL9ggml_type3ELS0_30ELb1EEvPKcS2_S2_S2_S2_PKiPfP15HIP_vector_typeIfLj2EEffffjfiS6_IjLj3EEiiiiiiiiiiiliiliiiiil.num_named_barrier, 0
	.set _ZL18flash_attn_ext_vecILi128ELi1EL9ggml_type3ELS0_30ELb1EEvPKcS2_S2_S2_S2_PKiPfP15HIP_vector_typeIfLj2EEffffjfiS6_IjLj3EEiiiiiiiiiiiliiliiiiil.private_seg_size, 0
	.set _ZL18flash_attn_ext_vecILi128ELi1EL9ggml_type3ELS0_30ELb1EEvPKcS2_S2_S2_S2_PKiPfP15HIP_vector_typeIfLj2EEffffjfiS6_IjLj3EEiiiiiiiiiiiliiliiiiil.uses_vcc, 1
	.set _ZL18flash_attn_ext_vecILi128ELi1EL9ggml_type3ELS0_30ELb1EEvPKcS2_S2_S2_S2_PKiPfP15HIP_vector_typeIfLj2EEffffjfiS6_IjLj3EEiiiiiiiiiiiliiliiiiil.uses_flat_scratch, 0
	.set _ZL18flash_attn_ext_vecILi128ELi1EL9ggml_type3ELS0_30ELb1EEvPKcS2_S2_S2_S2_PKiPfP15HIP_vector_typeIfLj2EEffffjfiS6_IjLj3EEiiiiiiiiiiiliiliiiiil.has_dyn_sized_stack, 0
	.set _ZL18flash_attn_ext_vecILi128ELi1EL9ggml_type3ELS0_30ELb1EEvPKcS2_S2_S2_S2_PKiPfP15HIP_vector_typeIfLj2EEffffjfiS6_IjLj3EEiiiiiiiiiiiliiliiiiil.has_recursion, 0
	.set _ZL18flash_attn_ext_vecILi128ELi1EL9ggml_type3ELS0_30ELb1EEvPKcS2_S2_S2_S2_PKiPfP15HIP_vector_typeIfLj2EEffffjfiS6_IjLj3EEiiiiiiiiiiiliiliiiiil.has_indirect_call, 0
	.section	.AMDGPU.csdata,"",@progbits
; Kernel info:
; codeLenInByte = 11032
; TotalNumSgprs: 74
; NumVgprs: 116
; NumAgprs: 0
; TotalNumVgprs: 116
; ScratchSize: 0
; MemoryBound: 0
; FloatMode: 240
; IeeeMode: 1
; LDSByteSize: 4352 bytes/workgroup (compile time only)
; SGPRBlocks: 9
; VGPRBlocks: 14
; NumSGPRsForWavesPerEU: 74
; NumVGPRsForWavesPerEU: 116
; AccumOffset: 116
; Occupancy: 4
; WaveLimiterHint : 1
; COMPUTE_PGM_RSRC2:SCRATCH_EN: 0
; COMPUTE_PGM_RSRC2:USER_SGPR: 2
; COMPUTE_PGM_RSRC2:TRAP_HANDLER: 0
; COMPUTE_PGM_RSRC2:TGID_X_EN: 1
; COMPUTE_PGM_RSRC2:TGID_Y_EN: 1
; COMPUTE_PGM_RSRC2:TGID_Z_EN: 1
; COMPUTE_PGM_RSRC2:TIDIG_COMP_CNT: 1
; COMPUTE_PGM_RSRC3_GFX90A:ACCUM_OFFSET: 28
; COMPUTE_PGM_RSRC3_GFX90A:TG_SPLIT: 0
	.section	.text._ZL18flash_attn_ext_vecILi128ELi2EL9ggml_type3ELS0_30ELb0EEvPKcS2_S2_S2_S2_PKiPfP15HIP_vector_typeIfLj2EEffffjfiS6_IjLj3EEiiiiiiiiiiiliiliiiiil,"axG",@progbits,_ZL18flash_attn_ext_vecILi128ELi2EL9ggml_type3ELS0_30ELb0EEvPKcS2_S2_S2_S2_PKiPfP15HIP_vector_typeIfLj2EEffffjfiS6_IjLj3EEiiiiiiiiiiiliiliiiiil,comdat
	.globl	_ZL18flash_attn_ext_vecILi128ELi2EL9ggml_type3ELS0_30ELb0EEvPKcS2_S2_S2_S2_PKiPfP15HIP_vector_typeIfLj2EEffffjfiS6_IjLj3EEiiiiiiiiiiiliiliiiiil ; -- Begin function _ZL18flash_attn_ext_vecILi128ELi2EL9ggml_type3ELS0_30ELb0EEvPKcS2_S2_S2_S2_PKiPfP15HIP_vector_typeIfLj2EEffffjfiS6_IjLj3EEiiiiiiiiiiiliiliiiiil
	.p2align	8
	.type	_ZL18flash_attn_ext_vecILi128ELi2EL9ggml_type3ELS0_30ELb0EEvPKcS2_S2_S2_S2_PKiPfP15HIP_vector_typeIfLj2EEffffjfiS6_IjLj3EEiiiiiiiiiiiliiliiiiil,@function
_ZL18flash_attn_ext_vecILi128ELi2EL9ggml_type3ELS0_30ELb0EEvPKcS2_S2_S2_S2_PKiPfP15HIP_vector_typeIfLj2EEffffjfiS6_IjLj3EEiiiiiiiiiiiliiliiiiil: ; @_ZL18flash_attn_ext_vecILi128ELi2EL9ggml_type3ELS0_30ELb0EEvPKcS2_S2_S2_S2_PKiPfP15HIP_vector_typeIfLj2EEffffjfiS6_IjLj3EEiiiiiiiiiiiliiliiiiil
; %bb.0:
	s_load_dwordx2 s[18:19], s[0:1], 0x64
	s_load_dwordx2 s[54:55], s[0:1], 0x80
	;; [unrolled: 1-line block ×3, first 2 shown]
	v_mov_b32_e32 v97, 1.0
	s_waitcnt lgkmcnt(0)
	v_cvt_f32_u32_e32 v1, s19
	s_sub_i32 s5, 0, s19
	v_rcp_iflag_f32_e32 v1, v1
	s_nop 0
	v_mul_f32_e32 v1, 0x4f7ffffe, v1
	v_cvt_u32_f32_e32 v1, v1
	s_nop 0
	v_readfirstlane_b32 s6, v1
	s_mul_i32 s5, s5, s6
	s_mul_hi_u32 s5, s6, s5
	s_add_i32 s6, s6, s5
	s_mul_hi_u32 s5, s4, s6
	s_mul_i32 s6, s5, s19
	s_sub_i32 s6, s4, s6
	s_add_i32 s7, s5, 1
	s_sub_i32 s8, s6, s19
	s_cmp_ge_u32 s6, s19
	s_cselect_b32 s5, s7, s5
	s_cselect_b32 s6, s8, s6
	s_add_i32 s7, s5, 1
	s_cmp_ge_u32 s6, s19
	s_cselect_b32 s62, s7, s5
	s_abs_i32 s5, s55
	v_cvt_f32_u32_e32 v1, s5
	s_mul_i32 s8, s62, s19
	s_sub_i32 s9, 0, s5
	s_sub_i32 s20, s4, s8
	v_rcp_iflag_f32_e32 v1, v1
	s_abs_i32 s7, s19
	s_xor_b32 s6, s19, s55
	s_ashr_i32 s6, s6, 31
	v_mul_f32_e32 v1, 0x4f7ffffe, v1
	v_cvt_u32_f32_e32 v1, v1
	s_nop 0
	v_readfirstlane_b32 s4, v1
	s_mul_i32 s9, s9, s4
	s_mul_hi_u32 s8, s4, s9
	s_add_i32 s4, s4, s8
	s_mul_hi_u32 s4, s7, s4
	s_mul_i32 s8, s4, s5
	s_sub_i32 s7, s7, s8
	s_add_i32 s9, s4, 1
	s_sub_i32 s8, s7, s5
	s_cmp_ge_u32 s7, s5
	s_cselect_b32 s4, s9, s4
	s_cselect_b32 s7, s8, s7
	s_add_i32 s8, s4, 1
	s_cmp_ge_u32 s7, s5
	s_cselect_b32 s4, s8, s4
	s_xor_b32 s4, s4, s6
	s_sub_i32 s26, s4, s6
	s_abs_i32 s24, s22
	s_abs_i32 s25, s26
	v_cvt_f32_u32_e32 v1, s24
	v_cvt_f32_u32_e32 v2, s25
	s_load_dwordx4 s[8:11], s[0:1], 0x40
	s_load_dword s4, s[0:1], 0x50
	v_rcp_iflag_f32_e32 v1, v1
	v_rcp_iflag_f32_e32 v2, v2
	s_waitcnt lgkmcnt(0)
	v_cmp_le_f32_e64 s[6:7], s9, 0
	s_and_b64 vcc, exec, s[6:7]
	v_mul_f32_e32 v1, 0x4f7ffffe, v1
	v_mul_f32_e32 v2, 0x4f7ffffe, v2
	v_cvt_u32_f32_e32 v1, v1
	v_cvt_u32_f32_e32 v2, v2
	v_readfirstlane_b32 s12, v1
	v_readfirstlane_b32 s13, v2
	s_cbranch_vccnz .LBB19_2
; %bb.1:
	v_mov_b32_e32 v1, s4
	v_sub_co_u32_e32 v1, vcc, s20, v1
	v_mov_b32_e32 v2, s11
	v_mov_b32_e32 v3, s10
	s_add_i32 s4, s20, 1
	v_lshlrev_b32_e32 v1, 1, v1
	v_cndmask_b32_e32 v2, v2, v3, vcc
	v_or_b32_e32 v1, 1, v1
	v_mov_b32_e32 v3, s4
	v_cndmask_b32_e32 v1, v1, v3, vcc
	v_cvt_f32_i32_e32 v1, v1
	v_cmp_neq_f32_e32 vcc, 1.0, v2
	s_mov_b32 s4, 0x3f2aaaab
	s_movk_i32 s6, 0x204
	v_cndmask_b32_e32 v1, 1.0, v1, vcc
	v_cmp_neq_f32_e32 vcc, 0, v1
	s_mov_b32 s5, 0x42b17218
	s_mov_b32 s7, 0x3fb8aa3b
	v_cndmask_b32_e32 v18, 1.0, v2, vcc
	v_frexp_mant_f32_e64 v2, |v18|
	v_cmp_gt_f32_e32 vcc, s4, v2
	s_mov_b32 s4, 0x3f317218
	s_brev_b32 s14, -2
	v_cndmask_b32_e64 v3, 1.0, 2.0, vcc
	v_mul_f32_e32 v2, v2, v3
	v_add_f32_e32 v5, 1.0, v2
	v_rcp_f32_e32 v10, v5
	v_add_f32_e32 v3, -1.0, v5
	v_sub_f32_e32 v7, v2, v3
	v_add_f32_e32 v3, -1.0, v2
	v_mul_f32_e32 v11, v3, v10
	v_mul_f32_e32 v4, v5, v11
	v_fma_f32 v6, v11, v5, -v4
	v_fmac_f32_e32 v6, v11, v7
	v_add_f32_e32 v2, v4, v6
	v_sub_f32_e32 v5, v3, v2
	v_pk_add_f32 v[8:9], v[2:3], v[4:5] neg_lo:[0,1] neg_hi:[0,1]
	v_mov_b32_e32 v7, v2
	v_pk_add_f32 v[2:3], v[8:9], v[6:7] neg_lo:[0,1] neg_hi:[0,1]
	v_mov_b32_e32 v6, 0x3e91f4c4
	v_add_f32_e32 v2, v2, v3
	v_add_f32_e32 v2, v5, v2
	v_mul_f32_e32 v3, v10, v2
	v_add_f32_e32 v2, v11, v3
	v_sub_f32_e32 v4, v2, v11
	v_sub_f32_e32 v12, v3, v4
	v_mul_f32_e32 v3, v2, v2
	v_fma_f32 v5, v2, v2, -v3
	v_add_f32_e32 v4, v12, v12
	v_fmac_f32_e32 v5, v2, v4
	v_add_f32_e32 v4, v3, v5
	v_fmac_f32_e32 v6, 0x3e76c4e1, v4
	v_fmaak_f32 v6, v4, v6, 0x3ecccdef
	v_sub_f32_e32 v3, v4, v3
	v_sub_f32_e32 v13, v5, v3
	v_mul_f32_e32 v3, v4, v6
	v_fma_f32 v5, v4, v6, -v3
	v_fmac_f32_e32 v5, v13, v6
	v_add_f32_e32 v6, v3, v5
	v_add_f32_e32 v7, 0x3f2aaaaa, v6
	v_sub_f32_e32 v3, v6, v3
	v_sub_f32_e32 v3, v5, v3
	v_add_f32_e32 v5, 0xbf2aaaaa, v7
	v_add_f32_e32 v3, 0x31739010, v3
	v_sub_f32_e32 v5, v6, v5
	v_pk_mul_f32 v[8:9], v[2:3], v[4:5]
	v_pk_add_f32 v[10:11], v[2:3], v[4:5]
	v_fma_f32 v6, v4, v2, -v8
	v_fmac_f32_e32 v6, v4, v12
	v_mov_b32_e32 v9, v11
	v_fmac_f32_e32 v6, v13, v2
	v_pk_add_f32 v[4:5], v[8:9], v[6:7]
	v_ldexp_f32 v14, v12, 1
	v_sub_f32_e32 v3, v4, v8
	v_sub_f32_e32 v3, v6, v3
	;; [unrolled: 1-line block ×3, first 2 shown]
	v_add_f32_e32 v9, v11, v6
	v_pk_mul_f32 v[6:7], v[4:5], v[4:5] op_sel:[0,1] op_sel_hi:[1,0]
	v_cvt_f64_f32_e64 v[10:11], |v18|
	v_frexp_exp_i32_f64_e32 v7, v[10:11]
	v_subbrev_co_u32_e32 v7, vcc, 0, v7, vcc
	v_cvt_f32_i32_e32 v7, v7
	v_fma_f32 v8, v4, v5, -v6
	v_fmac_f32_e32 v8, v4, v9
	v_fmac_f32_e32 v8, v3, v5
	v_mul_f32_e32 v4, 0x3f317218, v7
	v_fma_f32 v3, v7, s4, -v4
	v_fmamk_f32 v10, v7, 0xb102e308, v3
	v_ldexp_f32 v11, v2, 1
	v_add_f32_e32 v5, v6, v8
	v_pk_add_f32 v[2:3], v[4:5], v[10:11]
	v_mov_b32_e32 v12, v5
	v_mov_b32_e32 v13, v3
	;; [unrolled: 1-line block ×3, first 2 shown]
	v_pk_add_f32 v[6:7], v[12:13], v[6:7] neg_lo:[0,1] neg_hi:[0,1]
	v_mov_b32_e32 v9, v5
	v_pk_add_f32 v[6:7], v[8:9], v[6:7] neg_lo:[0,1] neg_hi:[0,1]
	v_mov_b32_e32 v11, v2
	v_add_f32_e32 v5, v14, v6
	v_add_f32_e32 v5, v5, v7
	v_pk_add_f32 v[6:7], v[2:3], v[4:5] neg_lo:[0,1] neg_hi:[0,1]
	v_pk_add_f32 v[8:9], v[2:3], v[4:5]
	v_mov_b32_e32 v16, v3
	v_mov_b32_e32 v7, v9
	v_pk_add_f32 v[12:13], v[10:11], v[6:7] neg_lo:[0,1] neg_hi:[0,1]
	v_pk_add_f32 v[6:7], v[10:11], v[6:7]
	v_mov_b32_e32 v4, v5
	v_pk_add_f32 v[10:11], v[6:7], v[2:3] op_sel:[1,0] op_sel_hi:[0,1] neg_lo:[0,1] neg_hi:[0,1]
	v_pk_add_f32 v[14:15], v[8:9], v[10:11] op_sel_hi:[1,0] neg_lo:[0,1] neg_hi:[0,1]
	v_mov_b32_e32 v8, v9
	v_mov_b32_e32 v9, v7
	;; [unrolled: 1-line block ×3, first 2 shown]
	v_pk_add_f32 v[8:9], v[8:9], v[16:17] neg_lo:[0,1] neg_hi:[0,1]
	v_mov_b32_e32 v5, v2
	v_pk_add_f32 v[2:3], v[4:5], v[8:9] neg_lo:[0,1] neg_hi:[0,1]
	v_mov_b32_e32 v14, v12
	v_pk_add_f32 v[4:5], v[14:15], v[2:3]
	v_mov_b32_e32 v13, v7
	v_pk_add_f32 v[8:9], v[4:5], v[4:5] op_sel:[0,1] op_sel_hi:[1,0]
	s_mov_b32 s4, 0x7f800000
	v_pk_add_f32 v[6:7], v[6:7], v[8:9] op_sel:[1,0] op_sel_hi:[0,1]
	v_mov_b32_e32 v5, v6
	v_pk_add_f32 v[10:11], v[4:5], v[12:13] neg_lo:[0,1] neg_hi:[0,1]
	v_mov_b32_e32 v3, v8
	v_sub_f32_e32 v4, v4, v10
	v_pk_add_f32 v[2:3], v[2:3], v[10:11] neg_lo:[0,1] neg_hi:[0,1]
	v_sub_f32_e32 v4, v12, v4
	v_add_f32_e32 v2, v2, v4
	v_add_f32_e32 v2, v2, v3
	;; [unrolled: 1-line block ×3, first 2 shown]
	v_sub_f32_e32 v4, v3, v6
	v_sub_f32_e32 v2, v2, v4
	v_mul_f32_e32 v4, v1, v3
	v_fma_f32 v3, v1, v3, -v4
	v_fmac_f32_e32 v3, v1, v2
	v_add_f32_e32 v2, v4, v3
	v_cmp_class_f32_e64 vcc, v4, s6
	v_sub_f32_e32 v5, v2, v4
	v_sub_f32_e32 v3, v3, v5
	v_cndmask_b32_e32 v2, v2, v4, vcc
	v_mov_b32_e32 v4, 0x37000000
	v_cmp_eq_f32_e32 vcc, s5, v2
	v_cmp_class_f32_e64 s[10:11], v18, s6
	s_nop 0
	v_cndmask_b32_e32 v4, 0, v4, vcc
	v_sub_f32_e32 v5, v2, v4
	v_mul_f32_e32 v6, 0x3fb8aa3b, v5
	v_fma_f32 v7, v5, s7, -v6
	v_rndne_f32_e32 v8, v6
	v_fmamk_f32 v7, v5, 0x32a5705f, v7
	v_sub_f32_e32 v6, v6, v8
	v_add_f32_e32 v6, v6, v7
	v_exp_f32_e32 v6, v6
	v_cvt_i32_f32_e32 v7, v8
	v_cmp_neq_f32_e64 vcc, |v2|, s4
	s_mov_b32 s4, 0xc2ce8ed0
	s_nop 0
	v_cndmask_b32_e32 v2, 0, v3, vcc
	v_ldexp_f32 v3, v6, v7
	v_cmp_ngt_f32_e32 vcc, s4, v5
	v_add_f32_e32 v2, v4, v2
	v_mov_b32_e32 v4, 0x7f800000
	v_cndmask_b32_e32 v3, 0, v3, vcc
	v_cmp_nlt_f32_e32 vcc, s5, v5
	v_mov_b32_e32 v5, 0x7fc00000
	s_nop 0
	v_cndmask_b32_e32 v3, v4, v3, vcc
	v_fma_f32 v2, v3, v2, v3
	v_cmp_class_f32_e64 vcc, v3, s6
	v_cmp_gt_f32_e64 s[6:7], 0, v1
	s_nop 0
	v_cndmask_b32_e32 v2, v2, v3, vcc
	v_trunc_f32_e32 v3, v1
	v_cmp_eq_f32_e32 vcc, v3, v1
	v_mul_f32_e32 v3, 0.5, v1
	v_trunc_f32_e32 v6, v3
	v_cmp_neq_f32_e64 s[4:5], v6, v3
	s_and_b64 s[4:5], vcc, s[4:5]
	s_nop 0
	v_cndmask_b32_e64 v3, 1.0, v18, s[4:5]
	v_bfi_b32 v2, s14, v2, v3
	v_cndmask_b32_e32 v3, v5, v2, vcc
	v_cmp_gt_f32_e32 vcc, 0, v18
	s_nop 1
	v_cndmask_b32_e32 v2, v2, v3, vcc
	v_cmp_eq_f32_e32 vcc, 0, v18
	s_xor_b64 s[6:7], s[6:7], vcc
	v_cndmask_b32_e64 v1, v4, 0, s[6:7]
	v_cndmask_b32_e64 v3, 0, v18, s[4:5]
	v_bfi_b32 v1, s14, v1, v3
	s_or_b64 vcc, vcc, s[10:11]
	v_cndmask_b32_e32 v1, v2, v1, vcc
	v_cmp_o_f32_e32 vcc, v18, v18
	s_nop 1
	v_cndmask_b32_e32 v97, v5, v1, vcc
.LBB19_2:
	s_load_dwordx16 s[36:51], s[0:1], 0x0
	s_mov_b32 s4, 0
	s_mov_b32 s5, s4
	v_bfe_u32 v95, v0, 10, 10
	v_and_b32_e32 v92, 0x3ff, v0
	v_mov_b32_e32 v33, 0
	s_mov_b32 s6, s4
	s_mov_b32 s7, s4
	v_mov_b64_e32 v[0:1], s[4:5]
	s_lshl_b32 s33, s2, 1
	v_mov_b64_e32 v[2:3], s[6:7]
	v_mov_b32_e32 v32, v33
	v_mov_b32_e32 v34, v33
	v_cmp_lt_u32_e64 s[16:17], 1, v95
	v_cmp_gt_u32_e32 vcc, 2, v95
	v_lshlrev_b32_e32 v96, 2, v92
	scratch_store_dword off, v33, off
	scratch_store_dwordx4 off, v[0:3], off offset:4
	scratch_store_dwordx4 off, v[0:3], off offset:20
	;; [unrolled: 1-line block ×3, first 2 shown]
	scratch_store_dwordx3 off, v[32:34], off offset:52
	s_and_saveexec_b64 s[4:5], vcc
	s_cbranch_execz .LBB19_13
; %bb.3:
	v_lshlrev_b32_e32 v5, 8, v95
	v_or_b32_e32 v0, s33, v95
	v_cmp_le_i32_e32 vcc, s18, v0
	v_add_u32_e32 v4, v5, v96
	s_and_saveexec_b64 s[6:7], vcc
	s_xor_b64 s[6:7], exec, s[6:7]
	s_cbranch_execz .LBB19_7
; %bb.4:
	v_cmp_gt_u32_e32 vcc, 4, v92
	v_mov_b32_e32 v0, 0
	ds_write_b32 v4, v0
	s_and_saveexec_b64 s[10:11], vcc
; %bb.5:
	v_add_u32_e32 v2, v4, v96
	v_mov_b32_e32 v1, v0
	ds_write_b64 v2, v[0:1] offset:128
; %bb.6:
	s_or_b64 exec, exec, s[10:11]
                                        ; implicit-def: $vgpr4
                                        ; implicit-def: $vgpr5
.LBB19_7:
	s_andn2_saveexec_b64 s[6:7], s[6:7]
	s_cbranch_execz .LBB19_13
; %bb.8:
	s_load_dwordx4 s[28:31], s[0:1], 0x70
	v_lshlrev_b32_e32 v2, 2, v96
	v_mov_b32_e32 v3, 0
	s_waitcnt lgkmcnt(0)
	s_mul_i32 s6, s62, s30
	s_mul_i32 s10, s28, s33
	;; [unrolled: 1-line block ×3, first 2 shown]
	s_add_i32 s6, s6, s10
	s_add_i32 s6, s6, s7
	s_ashr_i32 s7, s6, 31
	v_mul_lo_u32 v0, s28, v95
	s_add_u32 s6, s36, s6
	v_ashrrev_i32_e32 v1, 31, v0
	s_addc_u32 s7, s37, s7
	v_lshl_add_u64 v[0:1], s[6:7], 0, v[0:1]
	v_lshl_add_u64 v[0:1], v[0:1], 0, v[2:3]
	global_load_dwordx4 v[10:13], v[0:1], off
	v_mbcnt_lo_u32_b32 v0, -1, 0
	v_mbcnt_hi_u32_b32 v2, -1, v0
	v_and_b32_e32 v0, 0x60, v2
	v_xor_b32_e32 v1, 4, v2
	v_add_u32_e32 v14, 32, v0
	v_xor_b32_e32 v6, 2, v2
	v_cmp_lt_i32_e32 vcc, v1, v14
	v_xor_b32_e32 v7, 1, v2
	s_waitcnt vmcnt(0)
	v_mul_f32_e32 v9, s8, v10
	v_cndmask_b32_e32 v0, v2, v1, vcc
	v_cmp_lt_i32_e32 vcc, v6, v14
	v_mul_f32_e32 v8, s8, v12
	s_nop 0
	v_cndmask_b32_e32 v1, v2, v6, vcc
	v_lshlrev_b32_e32 v6, 2, v0
	v_lshlrev_b32_e32 v15, 2, v1
	v_mov_b32_e32 v0, v13
	v_mov_b32_e32 v1, v11
	v_pk_mul_f32 v[0:1], s[8:9], v[0:1] op_sel_hi:[0,1]
	v_max_f32_e64 v11, |v9|, |v1|
	v_max3_f32 v11, v11, |v8|, |v0|
	ds_bpermute_b32 v13, v6, v11
	v_fma_f32 v10, s8, v10, v1
	v_fmac_f32_e32 v10, s8, v12
	v_add_f32_e32 v10, v10, v0
	ds_bpermute_b32 v6, v6, v10
	s_waitcnt lgkmcnt(1)
	v_max_f32_e32 v12, v13, v13
	v_max_f32_e32 v11, v11, v12
	ds_bpermute_b32 v12, v15, v11
	v_cmp_lt_i32_e32 vcc, v7, v14
	s_waitcnt lgkmcnt(1)
	v_add_f32_e32 v6, v10, v6
	s_mov_b32 s8, 0x42fe0000
	v_cndmask_b32_e32 v2, v2, v7, vcc
	s_waitcnt lgkmcnt(0)
	v_max_f32_e32 v10, v12, v12
	v_lshlrev_b32_e32 v2, 2, v2
	v_max_f32_e32 v10, v11, v10
	ds_bpermute_b32 v7, v15, v6
	ds_bpermute_b32 v11, v2, v10
	s_waitcnt lgkmcnt(1)
	v_add_f32_e32 v6, v6, v7
	s_waitcnt lgkmcnt(0)
	v_max_f32_e32 v7, v11, v11
	v_max_f32_e32 v10, v10, v7
	v_div_scale_f32 v11, s[6:7], s8, s8, v10
	v_rcp_f32_e32 v12, v11
	ds_bpermute_b32 v7, v2, v6
	v_div_scale_f32 v2, vcc, v10, s8, v10
	v_fma_f32 v13, -v11, v12, 1.0
	v_fmac_f32_e32 v12, v13, v12
	v_mul_f32_e32 v13, v2, v12
	v_fma_f32 v14, -v11, v13, v2
	v_fmac_f32_e32 v13, v14, v12
	v_fma_f32 v2, -v11, v13, v2
	v_div_fmas_f32 v2, v2, v12, v13
	v_div_fixup_f32 v2, v2, s8, v10
	v_cmp_neq_f32_e32 vcc, 0, v2
	s_and_saveexec_b64 s[6:7], vcc
	s_cbranch_execz .LBB19_10
; %bb.9:
	v_div_scale_f32 v3, s[8:9], v2, v2, v9
	v_rcp_f32_e32 v10, v3
	v_div_scale_f32 v11, vcc, v9, v2, v9
	s_brev_b32 s10, -2
	v_fma_f32 v12, -v3, v10, 1.0
	v_fmac_f32_e32 v10, v12, v10
	v_mul_f32_e32 v12, v11, v10
	v_fma_f32 v13, -v3, v12, v11
	v_fmac_f32_e32 v12, v13, v10
	v_fma_f32 v3, -v3, v12, v11
	v_div_fmas_f32 v3, v3, v10, v12
	v_div_fixup_f32 v3, v3, v2, v9
	v_trunc_f32_e32 v9, v3
	v_sub_f32_e32 v10, v3, v9
	v_cmp_ge_f32_e64 s[8:9], |v10|, 0.5
	s_nop 1
	v_cndmask_b32_e64 v10, 0, 1.0, s[8:9]
	v_div_scale_f32 v11, s[8:9], v2, v2, v0
	v_rcp_f32_e32 v12, v11
	v_bfi_b32 v3, s10, v10, v3
	v_add_f32_e32 v3, v9, v3
	v_cvt_i32_f32_e32 v3, v3
	v_fma_f32 v9, -v11, v12, 1.0
	v_fmac_f32_e32 v12, v9, v12
	v_div_scale_f32 v9, vcc, v0, v2, v0
	v_mul_f32_e32 v10, v9, v12
	v_fma_f32 v13, -v11, v10, v9
	v_fmac_f32_e32 v10, v13, v12
	v_div_scale_f32 v13, s[8:9], v2, v2, v1
	v_rcp_f32_e32 v14, v13
	v_fma_f32 v9, -v11, v10, v9
	v_div_fmas_f32 v9, v9, v12, v10
	v_div_fixup_f32 v0, v9, v2, v0
	v_fma_f32 v10, -v13, v14, 1.0
	v_fmac_f32_e32 v14, v10, v14
	v_div_scale_f32 v10, vcc, v1, v2, v1
	v_mul_f32_e32 v11, v10, v14
	v_fma_f32 v12, -v13, v11, v10
	v_fmac_f32_e32 v11, v12, v14
	v_div_scale_f32 v12, s[8:9], v2, v2, v8
	v_rcp_f32_e32 v15, v12
	v_fma_f32 v10, -v13, v11, v10
	v_div_fmas_f32 v10, v10, v14, v11
	v_div_fixup_f32 v1, v10, v2, v1
	v_fma_f32 v11, -v12, v15, 1.0
	v_fmac_f32_e32 v15, v11, v15
	v_div_scale_f32 v11, vcc, v8, v2, v8
	v_mul_f32_e32 v13, v11, v15
	v_fma_f32 v14, -v12, v13, v11
	v_fmac_f32_e32 v13, v14, v15
	v_fma_f32 v11, -v12, v13, v11
	v_div_fmas_f32 v11, v11, v15, v13
	v_div_fixup_f32 v8, v11, v2, v8
	v_trunc_f32_e32 v11, v8
	v_sub_f32_e32 v12, v8, v11
	v_trunc_f32_e32 v9, v1
	v_cmp_ge_f32_e64 s[8:9], |v12|, 0.5
	v_sub_f32_e32 v10, v1, v9
	v_and_b32_e32 v3, 0xff, v3
	v_cndmask_b32_e64 v12, 0, 1.0, s[8:9]
	v_cmp_ge_f32_e64 s[8:9], |v10|, 0.5
	v_bfi_b32 v8, s10, v12, v8
	v_add_f32_e32 v8, v11, v8
	v_cndmask_b32_e64 v10, 0, 1.0, s[8:9]
	v_bfi_b32 v1, s10, v10, v1
	v_add_f32_e32 v1, v9, v1
	v_trunc_f32_e32 v9, v0
	v_sub_f32_e32 v10, v0, v9
	v_cmp_ge_f32_e64 s[8:9], |v10|, 0.5
	v_cvt_i32_f32_e32 v8, v8
	v_cvt_i32_f32_e32 v1, v1
	v_cndmask_b32_e64 v10, 0, 1.0, s[8:9]
	v_bfi_b32 v0, s10, v10, v0
	v_add_f32_e32 v0, v9, v0
	v_cvt_i32_f32_e32 v0, v0
	v_and_b32_e32 v8, 0xff, v8
	v_lshlrev_b32_e32 v8, 16, v8
	v_mov_b32_e32 v9, 8
	v_lshlrev_b32_sdwa v1, v9, v1 dst_sel:DWORD dst_unused:UNUSED_PAD src0_sel:DWORD src1_sel:BYTE_0
	v_lshl_or_b32 v0, v0, 24, v8
	v_or3_b32 v3, v0, v1, v3
.LBB19_10:
	s_or_b64 exec, exec, s[6:7]
	v_and_b32_e32 v0, 7, v92
	v_cmp_eq_u32_e32 vcc, 0, v0
	ds_write_b32 v4, v3
	s_and_saveexec_b64 s[6:7], vcc
	s_cbranch_execz .LBB19_12
; %bb.11:
	s_waitcnt lgkmcnt(1)
	v_add_f32_e32 v3, v6, v7
	v_add_u32_e32 v0, v5, v92
	ds_write_b64 v0, v[2:3] offset:128
.LBB19_12:
	s_or_b64 exec, exec, s[6:7]
.LBB19_13:
	s_or_b64 exec, exec, s[4:5]
	v_and_b32_e32 v16, 3, v92
	v_lshlrev_b32_e32 v17, 2, v16
	s_waitcnt lgkmcnt(0)
	s_barrier
	ds_read2_b32 v[34:35], v17 offset1:4
	ds_read2_b32 v[36:37], v17 offset0:8 offset1:12
	ds_read_b128 v[0:3], v33 offset:128
	ds_read_b128 v[4:7], v33 offset:144
	ds_read2_b32 v[38:39], v17 offset0:16 offset1:20
	ds_read2_b32 v[40:41], v17 offset0:24 offset1:28
	;; [unrolled: 1-line block ×5, first 2 shown]
	ds_read_b128 v[8:11], v33 offset:384
	ds_read_b128 v[12:15], v33 offset:400
	ds_read2_b32 v[48:49], v17 offset0:88 offset1:92
	s_cmp_eq_u64 s[46:47], 0
	s_mov_b32 s21, s54
	s_waitcnt lgkmcnt(0)
	s_barrier
	s_cbranch_scc1 .LBB19_15
; %bb.14:
	s_load_dword s4, s[0:1], 0xd0
	s_mov_b32 s5, 0
	s_waitcnt lgkmcnt(0)
	s_mul_i32 s4, s4, s62
	s_add_i32 s4, s4, s2
	s_lshl_b64 s[4:5], s[4:5], 2
	s_add_u32 s4, s46, s4
	s_addc_u32 s5, s47, s5
	s_load_dword s21, s[4:5], 0x0
.LBB19_15:
	v_lshlrev_b32_e32 v99, 5, v95
	v_add_u32_e32 v93, v99, v92
	s_lshl_b32 s22, s3, 7
	s_waitcnt lgkmcnt(0)
	s_cmp_ge_i32 s22, s21
	v_mbcnt_lo_u32_b32 v98, -1, 0
	v_lshlrev_b32_e32 v94, 1, v93
	s_cbranch_scc1 .LBB19_35
; %bb.16:
	s_sub_i32 s2, 0, s25
	s_sub_i32 s4, 0, s24
	s_mul_i32 s2, s2, s13
	s_mul_i32 s4, s4, s12
	s_mul_hi_u32 s2, s13, s2
	s_mul_hi_u32 s4, s12, s4
	s_abs_i32 s6, s20
	s_add_i32 s13, s13, s2
	s_abs_i32 s7, s62
	s_add_i32 s12, s12, s4
	s_mul_hi_u32 s8, s6, s13
	s_mul_hi_u32 s9, s7, s12
	s_load_dwordx2 s[10:11], s[0:1], 0x8c
	s_load_dwordx4 s[12:15], s[0:1], 0x98
	s_ashr_i32 s27, s20, 31
	s_ashr_i32 s26, s26, 31
	;; [unrolled: 1-line block ×3, first 2 shown]
	s_xor_b32 s26, s27, s26
	s_waitcnt lgkmcnt(0)
	s_mul_i32 s13, s13, s62
	s_mul_i32 s28, s12, s63
	;; [unrolled: 1-line block ×3, first 2 shown]
	s_mul_hi_u32 s2, s12, s62
	s_add_i32 s64, s28, s13
	s_sub_i32 s6, s6, s27
	s_add_i32 s2, s64, s2
	s_add_i32 s27, s8, 1
	s_sub_i32 s28, s6, s25
	s_cmp_ge_u32 s6, s25
	s_cselect_b32 s8, s27, s8
	s_cselect_b32 s6, s28, s6
	s_add_i32 s27, s8, 1
	s_cmp_ge_u32 s6, s25
	s_cselect_b32 s6, s27, s8
	s_xor_b32 s6, s6, s26
	s_sub_i32 s6, s6, s26
	s_mul_i32 s9, s9, s24
	s_mul_i32 s58, s6, s11
	;; [unrolled: 1-line block ×3, first 2 shown]
	s_sub_i32 s6, s7, s9
	s_ashr_i32 s59, s58, 31
	s_ashr_i32 s57, s56, 31
	s_sub_i32 s7, s6, s24
	s_cmp_ge_u32 s6, s24
	s_cselect_b32 s6, s7, s6
	s_sub_i32 s7, s6, s24
	s_load_dwordx2 s[4:5], s[0:1], 0xc8
	s_cmp_ge_u32 s6, s24
	s_cselect_b32 s6, s7, s6
	s_xor_b32 s6, s6, s63
	s_sub_i32 s6, s6, s63
	s_ashr_i32 s7, s6, 31
	s_load_dwordx2 s[60:61], s[0:1], 0xa8
	s_load_dword s8, s[0:1], 0xd4
	v_and_b32_e32 v17, 0x7c, v92
	s_waitcnt lgkmcnt(0)
	s_mul_i32 s7, s4, s7
	s_mul_hi_u32 s9, s4, s6
	v_add_u32_e32 v18, v99, v17
	v_mbcnt_hi_u32_b32 v17, -1, v98
	s_add_i32 s7, s9, s7
	s_mul_i32 s5, s5, s6
	s_mul_i32 s24, s23, s33
	v_and_b32_e32 v19, 0x7c, v17
	s_add_i32 s15, s7, s5
	s_ashr_i32 s25, s24, 31
	v_add_u32_e32 v19, 4, v19
	v_xor_b32_e32 v20, 2, v17
	v_cmp_lt_i32_e32 vcc, v20, v19
	s_cmp_lg_u64 s[42:43], 0
	s_mul_i32 s70, s4, s6
	v_cndmask_b32_e32 v20, v17, v20, vcc
	s_cselect_b64 s[6:7], -1, 0
	s_lshl_b32 s30, s8, 7
	v_lshlrev_b32_e32 v100, 2, v20
	v_xor_b32_e32 v20, 1, v17
	s_cmp_lt_i32 s33, s18
	v_cmp_lt_i32_e32 vcc, v20, v19
	s_cselect_b64 s[8:9], -1, 0
	s_and_b64 s[46:47], s[6:7], s[8:9]
	v_cndmask_b32_e32 v19, v17, v20, vcc
	v_mul_lo_u32 v20, v18, s10
	s_or_b32 s8, s33, 1
	s_cmp_lt_i32 s8, s18
	v_add_u32_e32 v24, s10, v20
	v_lshlrev_b32_e32 v101, 2, v19
	v_and_b32_e32 v19, 0x60, v17
	s_cselect_b64 s[8:9], -1, 0
	v_add_u32_e32 v26, s10, v24
	s_mul_i32 s28, s10, s22
	v_add_u32_e32 v19, 32, v19
	s_mul_i32 s34, s30, s10
	v_cmp_eq_u32_e64 s[4:5], 0, v16
	s_and_b64 s[52:53], s[6:7], s[8:9]
	v_cmp_eq_u32_e64 s[6:7], 1, v16
	v_cmp_eq_u32_e64 s[8:9], 2, v16
	v_add_u32_e32 v28, s10, v26
	v_cmp_eq_u32_e64 s[10:11], 3, v16
	v_xor_b32_e32 v16, 4, v17
	v_cmp_lt_i32_e32 vcc, v16, v19
	v_mov_b32_e32 v33, 0
	v_lshrrev_b32_e32 v30, 3, v92
	v_cndmask_b32_e32 v16, v17, v16, vcc
	v_lshlrev_b32_e32 v102, 2, v16
	v_xor_b32_e32 v16, 8, v17
	v_cmp_lt_i32_e32 vcc, v16, v19
	v_and_b32_e32 v32, 12, v96
	s_ashr_i32 s55, s54, 31
	v_cndmask_b32_e32 v16, v17, v16, vcc
	v_lshlrev_b32_e32 v103, 2, v16
	v_xor_b32_e32 v16, 16, v17
	v_cmp_lt_i32_e32 vcc, v16, v19
	v_mov_b32_e32 v19, v33
	v_mov_b32_e32 v66, s62
	v_cndmask_b32_e32 v16, v17, v16, vcc
	v_lshlrev_b32_e32 v104, 2, v16
	v_or_b32_e32 v16, v99, v30
	v_add_u32_e32 v22, s54, v18
	v_lshlrev_b32_e32 v105, 1, v16
	v_add_u32_e32 v86, v99, v30
	v_lshl_add_u64 v[16:17], s[54:55], 0, v[18:19]
	v_mad_u64_u32 v[30:31], s[54:55], s12, v66, v[32:33]
	s_mov_b32 s23, 0
	v_add_u32_e32 v31, s64, v31
	s_add_u32 s64, s38, s58
	s_addc_u32 s65, s39, s59
	s_lshl_b64 s[66:67], s[22:23], 1
	s_mul_i32 s13, s12, s62
	s_add_u32 s12, s42, s66
	s_mov_b32 s27, s23
	s_mov_b32 s29, s23
	;; [unrolled: 1-line block ×5, first 2 shown]
	s_addc_u32 s23, s43, s67
	s_add_u32 s68, s12, s70
	s_addc_u32 s69, s23, s15
	s_lshl_b64 s[54:55], s[30:31], 1
	s_add_u32 s12, s70, s66
	v_ashrrev_i32_e32 v25, 31, v24
	s_addc_u32 s15, s15, s67
	s_add_u32 s42, s42, s12
	v_lshl_add_u64 v[60:61], v[16:17], 1, s[68:69]
	v_lshl_add_u64 v[16:17], v[30:31], 0, v[24:25]
	v_lshlrev_b32_e32 v32, 1, v18
	s_addc_u32 s43, s43, s15
	v_lshl_add_u64 v[64:65], s[64:65], 0, v[16:17]
	v_and_b32_e32 v16, 7, v92
	v_lshl_add_u64 v[54:55], s[42:43], 0, v[32:33]
	s_add_u32 s42, s64, s13
	v_lshlrev_b32_e32 v32, 4, v16
	s_mul_i32 s12, s61, s62
	s_mul_i32 s15, s60, s63
	v_ashrrev_i32_e32 v23, 31, v22
	v_ashrrev_i32_e32 v27, 31, v26
	s_addc_u32 s43, s65, s2
	s_add_i32 s15, s15, s12
	v_mad_u64_u32 v[16:17], s[60:61], s60, v66, v[32:33]
	v_lshl_add_u64 v[52:53], v[22:23], 1, s[68:69]
	v_lshl_add_u64 v[18:19], v[30:31], 0, v[26:27]
	v_add_u32_e32 v17, s15, v17
	v_mul_lo_u32 v22, s14, v86
	v_lshl_add_u64 v[58:59], s[64:65], 0, v[18:19]
	v_lshl_add_u64 v[18:19], v[16:17], 0, s[56:57]
	v_ashrrev_i32_e32 v23, 31, v22
	s_add_u32 s12, s13, s58
	v_lshl_add_u64 v[18:19], v[18:19], 0, v[22:23]
	s_addc_u32 s2, s2, s59
	v_ashrrev_i32_e32 v21, 31, v20
	v_lshl_add_u64 v[66:67], s[40:41], 0, v[18:19]
	v_lshl_add_u64 v[18:19], v[30:31], 0, s[58:59]
	s_add_u32 s12, s38, s12
	v_lshl_add_u64 v[18:19], v[18:19], 0, v[20:21]
	s_addc_u32 s13, s39, s2
	v_lshl_add_u64 v[70:71], s[38:39], 0, v[18:19]
	v_lshl_add_u64 v[18:19], s[12:13], 0, v[20:21]
	;; [unrolled: 1-line block ×3, first 2 shown]
	v_add_u32_e32 v18, 4, v86
	v_mul_lo_u32 v18, s14, v18
	v_ashrrev_i32_e32 v19, 31, v18
	s_add_u32 s12, s40, s56
	v_lshl_add_u64 v[18:19], v[16:17], 0, v[18:19]
	s_addc_u32 s13, s41, s57
	v_lshl_add_u64 v[74:75], s[12:13], 0, v[18:19]
	v_add_u32_e32 v18, 28, v86
	v_mul_lo_u32 v18, s14, v18
	v_ashrrev_i32_e32 v19, 31, v18
	v_lshl_add_u64 v[18:19], v[16:17], 0, v[18:19]
	v_lshl_add_u64 v[76:77], s[12:13], 0, v[18:19]
	v_add_u32_e32 v18, 8, v86
	v_mul_lo_u32 v18, s14, v18
	v_ashrrev_i32_e32 v19, 31, v18
	v_lshl_add_u64 v[18:19], v[16:17], 0, v[18:19]
	;; [unrolled: 5-line block ×5, first 2 shown]
	v_lshl_add_u64 v[84:85], s[12:13], 0, v[18:19]
	v_add_u32_e32 v18, 16, v86
	v_mul_lo_u32 v18, s14, v18
	v_ashrrev_i32_e32 v29, 31, v28
	v_ashrrev_i32_e32 v19, 31, v18
	v_lshl_add_u64 v[50:51], v[30:31], 0, v[28:29]
	v_lshl_add_u64 v[16:17], v[16:17], 0, v[18:19]
	s_mul_i32 s26, s14, s22
	s_mul_i32 s36, s30, s14
	v_lshlrev_b32_e32 v106, 1, v86
	v_lshl_add_u64 v[50:51], s[64:65], 0, v[50:51]
	v_lshl_add_u64 v[56:57], s[42:43], 0, v[28:29]
	;; [unrolled: 1-line block ×5, first 2 shown]
	v_mov_b32_e32 v21, 0xfeffffff
	s_mov_b32 s2, 0x3fb8aa3b
	s_mov_b32 s23, 0xc2ce8ed0
	;; [unrolled: 1-line block ×3, first 2 shown]
	v_mov_b32_e32 v107, 0x7f800000
	v_mov_b32_e32 v32, v33
	;; [unrolled: 1-line block ×5, first 2 shown]
.LBB19_17:                              ; =>This Inner Loop Header: Depth=1
	v_lshl_add_u64 v[18:19], v[70:71], 0, s[28:29]
	v_lshl_add_u64 v[16:17], v[72:73], 0, s[28:29]
	global_load_dword v22, v[18:19], off offset:4
	global_load_dword v23, v[16:17], off offset:-60
	global_load_dword v24, v[18:19], off offset:24
	global_load_dword v25, v[16:17], off offset:-40
	global_load_dword v28, v[18:19], off offset:44
	global_load_dword v26, v[16:17], off offset:-20
	global_load_dword v108, v[18:19], off offset:64
	global_load_dword v110, v[16:17], off
	v_mov_b32_e32 v16, 0
	v_mov_b32_e32 v17, 0
	;; [unrolled: 1-line block ×8, first 2 shown]
	s_and_b64 vcc, exec, s[46:47]
	s_waitcnt vmcnt(7)
	v_and_b32_e32 v109, 0xf0f0f0f, v22
	v_lshrrev_b32_e32 v22, 4, v22
	s_waitcnt vmcnt(6)
	v_cvt_f32_f16_sdwa v91, v23 dst_sel:DWORD dst_unused:UNUSED_PAD src0_sel:WORD_1
	v_cvt_f32_f16_e32 v90, v23
	s_waitcnt vmcnt(5)
	v_and_b32_e32 v31, 0xf0f0f0f, v24
	v_lshrrev_b32_e32 v24, 4, v24
	v_dot4c_i32_i8_e32 v16, v109, v34
	s_waitcnt vmcnt(0)
	v_cvt_f32_f16_e32 v18, v110
	v_cvt_f32_f16_sdwa v19, v110 dst_sel:DWORD dst_unused:UNUSED_PAD src0_sel:WORD_1
	v_and_b32_e32 v110, 0xf0f0f0f, v22
	v_dot4c_i32_i8_e32 v17, v110, v35
	v_cvt_f32_f16_sdwa v30, v25 dst_sel:DWORD dst_unused:UNUSED_PAD src0_sel:WORD_1
	v_and_b32_e32 v23, 0xf0f0f0f, v108
	v_lshrrev_b32_e32 v112, 4, v108
	v_and_b32_e32 v108, 0xf0f0f0f, v24
	v_cvt_f32_i32_e32 v16, v16
	v_cvt_f32_i32_e32 v17, v17
	v_cvt_f32_f16_e32 v29, v25
	v_and_b32_e32 v27, 0xf0f0f0f, v28
	v_lshrrev_b32_e32 v28, 4, v28
	v_dot4c_i32_i8_e32 v111, v31, v36
	v_dot4c_i32_i8_e32 v113, v108, v37
	v_cvt_f32_f16_e32 v25, v26
	v_cvt_f32_f16_sdwa v26, v26 dst_sel:DWORD dst_unused:UNUSED_PAD src0_sel:WORD_1
	v_and_b32_e32 v28, 0xf0f0f0f, v28
	v_and_b32_e32 v24, 0xf0f0f0f, v112
	v_cvt_f32_i32_e32 v112, v111
	v_cvt_f32_i32_e32 v113, v113
	v_mul_f32_e32 v111, v1, v91
	v_dot4c_i32_i8_e32 v114, v27, v38
	v_dot4c_i32_i8_e32 v115, v28, v39
	v_mul_f32_e32 v22, v0, v90
	v_mul_f32_e32 v124, 0x3e000000, v111
	v_cvt_f32_i32_e32 v114, v114
	v_cvt_f32_i32_e32 v115, v115
	v_mul_f32_e32 v119, v3, v30
	v_pk_fma_f32 v[16:17], v[22:23], v[16:17], v[124:125] op_sel_hi:[0,1,0]
	v_dot4c_i32_i8_e32 v116, v23, v40
	v_dot4c_i32_i8_e32 v117, v24, v41
	v_mul_f32_e32 v118, v2, v29
	v_mul_f32_e32 v126, 0x3e000000, v119
	v_add_f32_e32 v16, 0, v16
	v_cvt_f32_i32_e32 v116, v116
	v_cvt_f32_i32_e32 v117, v117
	v_mul_f32_e32 v121, v5, v26
	v_pk_fma_f32 v[112:113], v[118:119], v[112:113], v[126:127] op_sel_hi:[0,1,0]
	v_add_f32_e32 v16, v16, v17
	v_mul_f32_e32 v120, v4, v25
	v_mul_f32_e32 v128, 0x3e000000, v121
	v_add_f32_e32 v16, v16, v112
	v_mul_f32_e32 v123, v7, v19
	v_pk_fma_f32 v[114:115], v[120:121], v[114:115], v[128:129] op_sel_hi:[0,1,0]
	v_add_f32_e32 v16, v16, v113
	v_mul_f32_e32 v122, v6, v18
	v_mul_f32_e32 v130, 0x3e000000, v123
	v_add_f32_e32 v16, v16, v114
	v_pk_fma_f32 v[116:117], v[122:123], v[116:117], v[130:131] op_sel_hi:[0,1,0]
	v_add_f32_e32 v16, v16, v115
	v_add_f32_e32 v16, v16, v116
	;; [unrolled: 1-line block ×3, first 2 shown]
	ds_bpermute_b32 v17, v100, v16
	s_waitcnt lgkmcnt(0)
	v_add_f32_e32 v22, v16, v17
	ds_bpermute_b32 v111, v101, v22
	v_lshl_add_u64 v[16:17], v[54:55], 0, s[24:25]
	s_waitcnt lgkmcnt(0)
	v_add_f32_e32 v22, v22, v111
	s_cbranch_vccz .LBB19_19
; %bb.18:                               ;   in Loop: Header=BB19_17 Depth=1
	global_load_ushort v111, v[16:17], off
	s_waitcnt vmcnt(0)
	v_fma_mix_f32 v22, v97, v111, v22 op_sel_hi:[0,1,0]
.LBB19_19:                              ;   in Loop: Header=BB19_17 Depth=1
	v_mov_b32_e32 v112, 0
	v_dot4c_i32_i8_e32 v112, v109, v42
	v_mov_b32_e32 v109, 0
	v_dot4c_i32_i8_e32 v109, v110, v43
	v_mul_f32_e32 v91, v9, v91
	v_cvt_f32_i32_e32 v110, v112
	v_mul_f32_e32 v90, v8, v90
	v_cvt_f32_i32_e32 v111, v109
	v_mul_f32_e32 v112, 0x3e000000, v91
	v_mul_f32_e32 v19, v15, v19
	;; [unrolled: 1-line block ×3, first 2 shown]
	v_pk_fma_f32 v[90:91], v[90:91], v[110:111], v[112:113] op_sel_hi:[0,1,0]
	v_add_f32_e32 v90, 0, v90
	v_add_f32_e32 v109, v90, v91
	v_mov_b32_e32 v90, 0
	v_dot4c_i32_i8_e32 v90, v31, v44
	v_mov_b32_e32 v31, 0
	v_dot4c_i32_i8_e32 v31, v108, v45
	v_mul_f32_e32 v108, v10, v29
	v_cvt_f32_i32_e32 v90, v90
	v_mul_f32_e32 v29, v11, v30
	v_cvt_f32_i32_e32 v91, v31
	v_mul_f32_e32 v30, 0x3e000000, v29
	s_andn2_b64 vcc, exec, s[52:53]
	v_pk_fma_f32 v[30:31], v[108:109], v[90:91], v[30:31] op_sel_hi:[0,1,0]
	v_add_f32_e32 v29, v109, v30
	v_mov_b32_e32 v30, 0
	v_dot4c_i32_i8_e32 v30, v27, v46
	v_mov_b32_e32 v27, 0
	v_dot4c_i32_i8_e32 v27, v28, v47
	v_add_f32_e32 v31, v29, v31
	v_cvt_f32_i32_e32 v28, v30
	v_mul_f32_e32 v30, v12, v25
	v_cvt_f32_i32_e32 v29, v27
	v_mul_f32_e32 v25, v13, v26
	v_mul_f32_e32 v26, 0x3e000000, v25
	v_pk_fma_f32 v[26:27], v[30:31], v[28:29], v[26:27] op_sel_hi:[0,1,0]
	v_add_f32_e32 v25, v31, v26
	v_mov_b32_e32 v26, 0
	v_dot4c_i32_i8_e32 v26, v23, v48
	v_mov_b32_e32 v23, 0
	v_dot4c_i32_i8_e32 v23, v24, v49
	v_add_f32_e32 v27, v25, v27
	v_cvt_f32_i32_e32 v24, v26
	v_mul_f32_e32 v26, 0x3e000000, v19
	v_cvt_f32_i32_e32 v25, v23
	v_cndmask_b32_e64 v23, 0, 1, s[52:53]
	v_cmp_ne_u32_e64 s[12:13], 1, v23
	v_pk_fma_f32 v[18:19], v[18:19], v[24:25], v[26:27] op_sel_hi:[0,1,0]
	v_add_f32_e32 v18, v27, v18
	v_add_f32_e32 v18, v18, v19
	ds_bpermute_b32 v19, v100, v18
	s_waitcnt lgkmcnt(0)
	v_add_f32_e32 v18, v18, v19
	ds_bpermute_b32 v19, v101, v18
	s_waitcnt lgkmcnt(0)
	v_add_f32_e32 v23, v18, v19
	s_cbranch_vccnz .LBB19_21
; %bb.20:                               ;   in Loop: Header=BB19_17 Depth=1
	v_lshl_add_u64 v[18:19], v[52:53], 0, s[24:25]
	global_load_ushort v18, v[18:19], off
	s_waitcnt vmcnt(0)
	v_fma_mix_f32 v23, v97, v18, v23 op_sel_hi:[0,1,0]
.LBB19_21:                              ;   in Loop: Header=BB19_17 Depth=1
	v_lshl_add_u64 v[24:25], v[64:65], 0, s[28:29]
	global_load_dword v26, v[24:25], off offset:4
	v_lshl_add_u64 v[18:19], v[68:69], 0, s[28:29]
	global_load_dword v27, v[18:19], off
	global_load_dword v28, v[18:19], off offset:40
	v_mov_b32_e32 v113, 0
	v_mov_b32_e32 v115, 0
	s_andn2_b64 vcc, exec, s[46:47]
	s_waitcnt vmcnt(2)
	v_and_b32_e32 v111, 0xf0f0f0f, v26
	v_lshrrev_b32_e32 v26, 4, v26
	v_and_b32_e32 v112, 0xf0f0f0f, v26
	global_load_dword v26, v[24:25], off offset:24
	s_waitcnt vmcnt(2)
	v_cvt_f32_f16_e32 v109, v27
	v_cvt_f32_f16_sdwa v110, v27 dst_sel:DWORD dst_unused:UNUSED_PAD src0_sel:WORD_1
	global_load_dword v27, v[18:19], off offset:20
	v_dot4c_i32_i8_e32 v113, v111, v34
	global_load_dword v19, v[18:19], off offset:60
	v_dot4c_i32_i8_e32 v115, v112, v35
	v_mul_f32_e32 v114, v1, v110
	v_cvt_f32_i32_e32 v116, v113
	v_mul_f32_e32 v114, 0x3e000000, v114
	v_cvt_f32_i32_e32 v117, v115
	s_waitcnt vmcnt(2)
	v_and_b32_e32 v91, 0xf0f0f0f, v26
	v_lshrrev_b32_e32 v26, 4, v26
	v_and_b32_e32 v108, 0xf0f0f0f, v26
	global_load_dword v26, v[24:25], off offset:44
	s_waitcnt vmcnt(2)
	v_cvt_f32_f16_sdwa v90, v27 dst_sel:DWORD dst_unused:UNUSED_PAD src0_sel:WORD_1
	global_load_dword v24, v[24:25], off offset:64
	v_cvt_f32_f16_e32 v31, v27
	v_cvt_f32_f16_e32 v27, v28
	v_cvt_f32_f16_sdwa v28, v28 dst_sel:DWORD dst_unused:UNUSED_PAD src0_sel:WORD_1
	s_waitcnt vmcnt(2)
	v_cvt_f32_f16_e32 v18, v19
	v_cvt_f32_f16_sdwa v19, v19 dst_sel:DWORD dst_unused:UNUSED_PAD src0_sel:WORD_1
	s_waitcnt vmcnt(1)
	v_and_b32_e32 v29, 0xf0f0f0f, v26
	v_lshrrev_b32_e32 v26, 4, v26
	s_waitcnt vmcnt(0)
	v_and_b32_e32 v25, 0xf0f0f0f, v24
	v_lshrrev_b32_e32 v24, 4, v24
	v_and_b32_e32 v30, 0xf0f0f0f, v26
	v_and_b32_e32 v26, 0xf0f0f0f, v24
	v_mul_f32_e32 v24, v0, v109
	v_pk_fma_f32 v[114:115], v[24:25], v[116:117], v[114:115] op_sel_hi:[0,1,0]
	v_add_f32_e32 v24, 0, v114
	v_add_f32_e32 v113, v24, v115
	v_mov_b32_e32 v115, 0
	v_mov_b32_e32 v117, 0
	v_dot4c_i32_i8_e32 v115, v91, v36
	v_dot4c_i32_i8_e32 v117, v108, v37
	v_mul_f32_e32 v114, v3, v90
	v_mul_f32_e32 v24, v2, v31
	v_cvt_f32_i32_e32 v116, v115
	v_cvt_f32_i32_e32 v117, v117
	v_mul_f32_e32 v114, 0x3e000000, v114
	v_pk_fma_f32 v[114:115], v[24:25], v[116:117], v[114:115] op_sel_hi:[0,1,0]
	v_add_f32_e32 v24, v113, v114
	v_add_f32_e32 v113, v24, v115
	v_mov_b32_e32 v115, 0
	v_mov_b32_e32 v117, 0
	v_dot4c_i32_i8_e32 v115, v29, v38
	v_dot4c_i32_i8_e32 v117, v30, v39
	v_mul_f32_e32 v114, v5, v28
	v_mul_f32_e32 v24, v4, v27
	v_cvt_f32_i32_e32 v116, v115
	v_cvt_f32_i32_e32 v117, v117
	;; [unrolled: 12-line block ×3, first 2 shown]
	v_mul_f32_e32 v114, 0x3e000000, v114
	v_pk_fma_f32 v[114:115], v[24:25], v[116:117], v[114:115] op_sel_hi:[0,1,0]
	v_add_f32_e32 v24, v113, v114
	v_add_f32_e32 v24, v24, v115
	ds_bpermute_b32 v113, v100, v24
	s_waitcnt lgkmcnt(0)
	v_add_f32_e32 v24, v24, v113
	ds_bpermute_b32 v113, v101, v24
	s_waitcnt lgkmcnt(0)
	v_add_f32_e32 v24, v24, v113
	v_cndmask_b32_e64 v113, 0, 1, s[46:47]
	v_cmp_ne_u32_e64 s[14:15], 1, v113
	s_cbranch_vccnz .LBB19_23
; %bb.22:                               ;   in Loop: Header=BB19_17 Depth=1
	global_load_ushort v113, v[16:17], off offset:2
	s_waitcnt vmcnt(0)
	v_fma_mix_f32 v24, v97, v113, v24 op_sel_hi:[0,1,0]
.LBB19_23:                              ;   in Loop: Header=BB19_17 Depth=1
	v_mov_b32_e32 v114, 0
	v_dot4c_i32_i8_e32 v114, v111, v42
	v_mov_b32_e32 v111, 0
	v_dot4c_i32_i8_e32 v111, v112, v43
	v_mul_f32_e32 v19, v15, v19
	v_cvt_f32_i32_e32 v112, v114
	v_mul_f32_e32 v114, v8, v109
	v_cvt_f32_i32_e32 v113, v111
	v_mul_f32_e32 v109, v9, v110
	v_mul_f32_e32 v110, 0x3e000000, v109
	;; [unrolled: 1-line block ×3, first 2 shown]
	v_pk_fma_f32 v[110:111], v[114:115], v[112:113], v[110:111] op_sel_hi:[0,1,0]
	v_add_f32_e32 v109, 0, v110
	v_mov_b32_e32 v110, 0
	v_dot4c_i32_i8_e32 v110, v91, v44
	v_mov_b32_e32 v91, 0
	v_dot4c_i32_i8_e32 v91, v108, v45
	v_add_f32_e32 v111, v109, v111
	v_cvt_f32_i32_e32 v108, v110
	v_mul_f32_e32 v110, v10, v31
	v_cvt_f32_i32_e32 v109, v91
	v_mul_f32_e32 v31, v11, v90
	v_mul_f32_e32 v90, 0x3e000000, v31
	s_and_b64 vcc, exec, s[12:13]
	v_pk_fma_f32 v[90:91], v[110:111], v[108:109], v[90:91] op_sel_hi:[0,1,0]
	v_add_f32_e32 v31, v111, v90
	v_mov_b32_e32 v90, 0
	v_dot4c_i32_i8_e32 v90, v29, v46
	v_mov_b32_e32 v29, 0
	v_dot4c_i32_i8_e32 v29, v30, v47
	v_add_f32_e32 v91, v31, v91
	v_cvt_f32_i32_e32 v30, v90
	v_mul_f32_e32 v90, v12, v27
	v_cvt_f32_i32_e32 v31, v29
	v_mul_f32_e32 v27, v13, v28
	v_mul_f32_e32 v28, 0x3e000000, v27
	v_pk_fma_f32 v[28:29], v[90:91], v[30:31], v[28:29] op_sel_hi:[0,1,0]
	v_add_f32_e32 v27, v91, v28
	v_mov_b32_e32 v28, 0
	v_dot4c_i32_i8_e32 v28, v25, v48
	v_mov_b32_e32 v25, 0
	v_dot4c_i32_i8_e32 v25, v26, v49
	v_add_f32_e32 v29, v27, v29
	v_cvt_f32_i32_e32 v26, v28
	v_mul_f32_e32 v28, 0x3e000000, v19
	v_cvt_f32_i32_e32 v27, v25
	v_pk_fma_f32 v[18:19], v[18:19], v[26:27], v[28:29] op_sel_hi:[0,1,0]
	v_add_f32_e32 v18, v29, v18
	v_add_f32_e32 v18, v18, v19
	ds_bpermute_b32 v19, v100, v18
	s_waitcnt lgkmcnt(0)
	v_add_f32_e32 v18, v18, v19
	ds_bpermute_b32 v19, v101, v18
	s_waitcnt lgkmcnt(0)
	v_add_f32_e32 v25, v18, v19
	v_lshl_add_u64 v[18:19], v[60:61], 0, s[24:25]
	s_cbranch_vccnz .LBB19_25
; %bb.24:                               ;   in Loop: Header=BB19_17 Depth=1
	global_load_ushort v26, v[18:19], off offset:2
	s_waitcnt vmcnt(0)
	v_fma_mix_f32 v25, v97, v26, v25 op_sel_hi:[0,1,0]
.LBB19_25:                              ;   in Loop: Header=BB19_17 Depth=1
	v_lshl_add_u64 v[28:29], v[58:59], 0, s[28:29]
	global_load_dword v30, v[28:29], off offset:4
	v_lshl_add_u64 v[26:27], v[62:63], 0, s[28:29]
	global_load_dword v31, v[26:27], off
	global_load_dword v90, v[26:27], off offset:40
	v_mov_b32_e32 v117, 0
	v_mov_b32_e32 v119, 0
	s_and_b64 vcc, exec, s[14:15]
	s_waitcnt vmcnt(2)
	v_and_b32_e32 v115, 0xf0f0f0f, v30
	v_lshrrev_b32_e32 v30, 4, v30
	v_and_b32_e32 v116, 0xf0f0f0f, v30
	global_load_dword v30, v[28:29], off offset:24
	s_waitcnt vmcnt(2)
	v_cvt_f32_f16_e32 v113, v31
	v_cvt_f32_f16_sdwa v114, v31 dst_sel:DWORD dst_unused:UNUSED_PAD src0_sel:WORD_1
	global_load_dword v31, v[26:27], off offset:20
	v_dot4c_i32_i8_e32 v117, v115, v34
	global_load_dword v26, v[26:27], off offset:60
	v_dot4c_i32_i8_e32 v119, v116, v35
	v_mul_f32_e32 v118, v1, v114
	v_cvt_f32_i32_e32 v120, v117
	v_mul_f32_e32 v118, 0x3e000000, v118
	v_cvt_f32_i32_e32 v121, v119
	s_waitcnt vmcnt(2)
	v_and_b32_e32 v111, 0xf0f0f0f, v30
	v_lshrrev_b32_e32 v30, 4, v30
	v_and_b32_e32 v112, 0xf0f0f0f, v30
	global_load_dword v30, v[28:29], off offset:44
	s_waitcnt vmcnt(2)
	v_cvt_f32_f16_sdwa v110, v31 dst_sel:DWORD dst_unused:UNUSED_PAD src0_sel:WORD_1
	s_waitcnt vmcnt(1)
	v_cvt_f32_f16_e32 v27, v26
	v_cvt_f32_f16_e32 v109, v31
	;; [unrolled: 1-line block ×3, first 2 shown]
	v_cvt_f32_f16_sdwa v90, v90 dst_sel:DWORD dst_unused:UNUSED_PAD src0_sel:WORD_1
	s_waitcnt vmcnt(0)
	v_and_b32_e32 v91, 0xf0f0f0f, v30
	v_lshrrev_b32_e32 v30, 4, v30
	v_and_b32_e32 v108, 0xf0f0f0f, v30
	global_load_dword v30, v[28:29], off offset:64
	v_cvt_f32_f16_sdwa v28, v26 dst_sel:DWORD dst_unused:UNUSED_PAD src0_sel:WORD_1
	s_waitcnt vmcnt(0)
	v_lshrrev_b32_e32 v26, 4, v30
	v_and_b32_e32 v29, 0xf0f0f0f, v30
	v_and_b32_e32 v30, 0xf0f0f0f, v26
	v_mul_f32_e32 v26, v0, v113
	v_pk_fma_f32 v[118:119], v[26:27], v[120:121], v[118:119] op_sel_hi:[0,1,0]
	v_add_f32_e32 v26, 0, v118
	v_add_f32_e32 v117, v26, v119
	v_mov_b32_e32 v119, 0
	v_mov_b32_e32 v121, 0
	v_dot4c_i32_i8_e32 v119, v111, v36
	v_dot4c_i32_i8_e32 v121, v112, v37
	v_mul_f32_e32 v118, v3, v110
	v_mul_f32_e32 v26, v2, v109
	v_cvt_f32_i32_e32 v120, v119
	v_cvt_f32_i32_e32 v121, v121
	v_mul_f32_e32 v118, 0x3e000000, v118
	v_pk_fma_f32 v[118:119], v[26:27], v[120:121], v[118:119] op_sel_hi:[0,1,0]
	v_add_f32_e32 v26, v117, v118
	v_add_f32_e32 v117, v26, v119
	v_mov_b32_e32 v119, 0
	v_mov_b32_e32 v121, 0
	v_dot4c_i32_i8_e32 v119, v91, v38
	v_dot4c_i32_i8_e32 v121, v108, v39
	v_mul_f32_e32 v118, v5, v90
	v_mul_f32_e32 v26, v4, v31
	v_cvt_f32_i32_e32 v120, v119
	v_cvt_f32_i32_e32 v121, v121
	;; [unrolled: 12-line block ×3, first 2 shown]
	v_mul_f32_e32 v118, 0x3e000000, v118
	v_pk_fma_f32 v[118:119], v[26:27], v[120:121], v[118:119] op_sel_hi:[0,1,0]
	v_add_f32_e32 v26, v117, v118
	v_add_f32_e32 v26, v26, v119
	ds_bpermute_b32 v117, v100, v26
	s_waitcnt lgkmcnt(0)
	v_add_f32_e32 v26, v26, v117
	ds_bpermute_b32 v117, v101, v26
	s_waitcnt lgkmcnt(0)
	v_add_f32_e32 v26, v26, v117
	s_cbranch_vccnz .LBB19_27
; %bb.26:                               ;   in Loop: Header=BB19_17 Depth=1
	global_load_ushort v117, v[16:17], off offset:4
	s_waitcnt vmcnt(0)
	v_fma_mix_f32 v26, v97, v117, v26 op_sel_hi:[0,1,0]
.LBB19_27:                              ;   in Loop: Header=BB19_17 Depth=1
	v_mov_b32_e32 v118, 0
	v_dot4c_i32_i8_e32 v118, v115, v42
	v_mov_b32_e32 v115, 0
	v_dot4c_i32_i8_e32 v115, v116, v43
	s_and_b64 vcc, exec, s[12:13]
	v_cvt_f32_i32_e32 v116, v118
	v_mul_f32_e32 v118, v8, v113
	v_cvt_f32_i32_e32 v117, v115
	v_mul_f32_e32 v113, v9, v114
	v_mul_f32_e32 v114, 0x3e000000, v113
	v_pk_fma_f32 v[114:115], v[118:119], v[116:117], v[114:115] op_sel_hi:[0,1,0]
	v_add_f32_e32 v113, 0, v114
	v_mov_b32_e32 v114, 0
	v_dot4c_i32_i8_e32 v114, v111, v44
	v_mov_b32_e32 v111, 0
	v_dot4c_i32_i8_e32 v111, v112, v45
	v_add_f32_e32 v115, v113, v115
	v_cvt_f32_i32_e32 v112, v114
	v_mul_f32_e32 v114, v10, v109
	v_cvt_f32_i32_e32 v113, v111
	v_mul_f32_e32 v109, v11, v110
	v_mul_f32_e32 v110, 0x3e000000, v109
	v_pk_fma_f32 v[110:111], v[114:115], v[112:113], v[110:111] op_sel_hi:[0,1,0]
	v_add_f32_e32 v109, v115, v110
	v_mov_b32_e32 v110, 0
	v_dot4c_i32_i8_e32 v110, v91, v46
	v_mov_b32_e32 v91, 0
	v_dot4c_i32_i8_e32 v91, v108, v47
	v_add_f32_e32 v111, v109, v111
	;; [unrolled: 12-line block ×3, first 2 shown]
	v_cvt_f32_i32_e32 v30, v90
	v_mul_f32_e32 v90, v14, v27
	v_cvt_f32_i32_e32 v31, v29
	v_mul_f32_e32 v27, v15, v28
	v_mul_f32_e32 v28, 0x3e000000, v27
	v_pk_fma_f32 v[28:29], v[90:91], v[30:31], v[28:29] op_sel_hi:[0,1,0]
	v_add_f32_e32 v27, v91, v28
	v_add_f32_e32 v27, v27, v29
	ds_bpermute_b32 v28, v100, v27
	s_waitcnt lgkmcnt(0)
	v_add_f32_e32 v27, v27, v28
	ds_bpermute_b32 v28, v101, v27
	s_waitcnt lgkmcnt(0)
	v_add_f32_e32 v27, v27, v28
	s_cbranch_vccnz .LBB19_29
; %bb.28:                               ;   in Loop: Header=BB19_17 Depth=1
	global_load_ushort v28, v[18:19], off offset:4
	s_waitcnt vmcnt(0)
	v_fma_mix_f32 v27, v97, v28, v27 op_sel_hi:[0,1,0]
.LBB19_29:                              ;   in Loop: Header=BB19_17 Depth=1
	v_lshl_add_u64 v[28:29], v[56:57], 0, s[28:29]
	global_load_dword v91, v[28:29], off
	v_lshl_add_u64 v[30:31], v[50:51], 0, s[28:29]
	global_load_dword v90, v[30:31], off offset:4
	global_load_dword v109, v[30:31], off offset:44
	v_mov_b32_e32 v119, 0
	v_mov_b32_e32 v121, 0
	s_and_b64 vcc, exec, s[14:15]
	s_waitcnt vmcnt(2)
	v_cvt_f32_f16_e32 v114, v91
	v_cvt_f32_f16_sdwa v115, v91 dst_sel:DWORD dst_unused:UNUSED_PAD src0_sel:WORD_1
	global_load_dword v91, v[28:29], off offset:20
	s_waitcnt vmcnt(2)
	v_and_b32_e32 v116, 0xf0f0f0f, v90
	v_lshrrev_b32_e32 v90, 4, v90
	v_and_b32_e32 v117, 0xf0f0f0f, v90
	global_load_dword v90, v[30:31], off offset:24
	v_dot4c_i32_i8_e32 v119, v116, v34
	global_load_dword v31, v[30:31], off offset:64
	v_dot4c_i32_i8_e32 v121, v117, v35
	v_mul_f32_e32 v120, v1, v115
	v_cvt_f32_i32_e32 v122, v119
	v_mul_f32_e32 v118, v0, v114
	v_cvt_f32_i32_e32 v123, v121
	v_mul_f32_e32 v120, 0x3e000000, v120
	s_waitcnt vmcnt(3)
	v_and_b32_e32 v108, 0xf0f0f0f, v109
	v_lshrrev_b32_e32 v109, 4, v109
	v_pk_fma_f32 v[118:119], v[118:119], v[122:123], v[120:121] op_sel_hi:[0,1,0]
	v_add_f32_e32 v118, 0, v118
	v_add_f32_e32 v121, v118, v119
	v_mov_b32_e32 v119, 0
	v_mov_b32_e32 v123, 0
	v_and_b32_e32 v109, 0xf0f0f0f, v109
	s_waitcnt vmcnt(2)
	v_cvt_f32_f16_e32 v110, v91
	v_cvt_f32_f16_sdwa v111, v91 dst_sel:DWORD dst_unused:UNUSED_PAD src0_sel:WORD_1
	global_load_dword v91, v[28:29], off offset:40
	s_waitcnt vmcnt(2)
	v_and_b32_e32 v112, 0xf0f0f0f, v90
	global_load_dword v29, v[28:29], off offset:60
	v_lshrrev_b32_e32 v90, 4, v90
	v_and_b32_e32 v113, 0xf0f0f0f, v90
	v_dot4c_i32_i8_e32 v119, v112, v36
	v_dot4c_i32_i8_e32 v123, v113, v37
	v_mul_f32_e32 v120, v3, v111
	v_mul_f32_e32 v118, v2, v110
	v_cvt_f32_i32_e32 v122, v119
	v_cvt_f32_i32_e32 v123, v123
	v_mul_f32_e32 v120, 0x3e000000, v120
	s_waitcnt vmcnt(2)
	v_and_b32_e32 v30, 0xf0f0f0f, v31
	v_lshrrev_b32_e32 v31, 4, v31
	v_pk_fma_f32 v[118:119], v[118:119], v[122:123], v[120:121] op_sel_hi:[0,1,0]
	v_add_f32_e32 v118, v121, v118
	v_add_f32_e32 v121, v118, v119
	v_mov_b32_e32 v119, 0
	v_mov_b32_e32 v123, 0
	v_dot4c_i32_i8_e32 v119, v108, v38
	v_dot4c_i32_i8_e32 v123, v109, v39
	v_and_b32_e32 v31, 0xf0f0f0f, v31
	s_waitcnt vmcnt(1)
	v_cvt_f32_f16_e32 v90, v91
	v_cvt_f32_f16_sdwa v91, v91 dst_sel:DWORD dst_unused:UNUSED_PAD src0_sel:WORD_1
	v_cvt_f32_i32_e32 v122, v119
	v_cvt_f32_i32_e32 v123, v123
	v_mul_f32_e32 v118, v4, v90
	v_mul_f32_e32 v120, v5, v91
	;; [unrolled: 1-line block ×3, first 2 shown]
	v_pk_fma_f32 v[118:119], v[118:119], v[122:123], v[120:121] op_sel_hi:[0,1,0]
	v_add_f32_e32 v118, v121, v118
	s_waitcnt vmcnt(0)
	v_cvt_f32_f16_e32 v28, v29
	v_cvt_f32_f16_sdwa v29, v29 dst_sel:DWORD dst_unused:UNUSED_PAD src0_sel:WORD_1
	v_add_f32_e32 v121, v118, v119
	v_mov_b32_e32 v119, 0
	v_mov_b32_e32 v123, 0
	v_dot4c_i32_i8_e32 v119, v30, v40
	v_dot4c_i32_i8_e32 v123, v31, v41
	v_mul_f32_e32 v120, v7, v29
	v_mul_f32_e32 v118, v6, v28
	v_cvt_f32_i32_e32 v122, v119
	v_cvt_f32_i32_e32 v123, v123
	v_mul_f32_e32 v120, 0x3e000000, v120
	v_pk_fma_f32 v[118:119], v[118:119], v[122:123], v[120:121] op_sel_hi:[0,1,0]
	v_add_f32_e32 v118, v121, v118
	v_add_f32_e32 v118, v118, v119
	ds_bpermute_b32 v119, v100, v118
	s_waitcnt lgkmcnt(0)
	v_add_f32_e32 v118, v118, v119
	ds_bpermute_b32 v119, v101, v118
	s_waitcnt lgkmcnt(0)
	v_add_f32_e32 v118, v118, v119
	s_cbranch_vccnz .LBB19_31
; %bb.30:                               ;   in Loop: Header=BB19_17 Depth=1
	global_load_ushort v16, v[16:17], off offset:6
	s_waitcnt vmcnt(0)
	v_fma_mix_f32 v118, v97, v16, v118 op_sel_hi:[0,1,0]
.LBB19_31:                              ;   in Loop: Header=BB19_17 Depth=1
	v_mov_b32_e32 v16, 0
	v_mov_b32_e32 v17, 0
	v_dot4c_i32_i8_e32 v16, v116, v42
	v_dot4c_i32_i8_e32 v17, v117, v43
	v_mul_f32_e32 v115, v9, v115
	v_mul_f32_e32 v114, v8, v114
	v_cvt_f32_i32_e32 v16, v16
	v_cvt_f32_i32_e32 v17, v17
	v_mul_f32_e32 v116, 0x3e000000, v115
	v_mul_f32_e32 v111, v11, v111
	;; [unrolled: 1-line block ×3, first 2 shown]
	v_pk_fma_f32 v[16:17], v[114:115], v[16:17], v[116:117] op_sel_hi:[0,1,0]
	v_add_f32_e32 v16, 0, v16
	v_add_f32_e32 v114, v16, v17
	v_mov_b32_e32 v16, 0
	v_mov_b32_e32 v17, 0
	v_dot4c_i32_i8_e32 v16, v112, v44
	v_dot4c_i32_i8_e32 v17, v113, v45
	v_mul_f32_e32 v112, 0x3e000000, v111
	v_mul_f32_e32 v91, v13, v91
	v_cvt_f32_i32_e32 v16, v16
	v_cvt_f32_i32_e32 v17, v17
	v_mul_f32_e32 v90, v12, v90
	v_mul_f32_e32 v29, v15, v29
	;; [unrolled: 1-line block ×3, first 2 shown]
	v_pk_fma_f32 v[16:17], v[110:111], v[16:17], v[112:113] op_sel_hi:[0,1,0]
	v_add_f32_e32 v16, v114, v16
	v_add_f32_e32 v110, v16, v17
	v_mov_b32_e32 v16, 0
	v_mov_b32_e32 v17, 0
	v_dot4c_i32_i8_e32 v16, v108, v46
	v_dot4c_i32_i8_e32 v17, v109, v47
	v_mul_f32_e32 v108, 0x3e000000, v91
	s_and_b64 vcc, exec, s[12:13]
	v_cvt_f32_i32_e32 v16, v16
	v_cvt_f32_i32_e32 v17, v17
	v_pk_fma_f32 v[16:17], v[90:91], v[16:17], v[108:109] op_sel_hi:[0,1,0]
	v_add_f32_e32 v16, v110, v16
	v_add_f32_e32 v90, v16, v17
	v_mov_b32_e32 v16, 0
	v_mov_b32_e32 v17, 0
	v_dot4c_i32_i8_e32 v16, v30, v48
	v_dot4c_i32_i8_e32 v17, v31, v49
	v_mul_f32_e32 v30, 0x3e000000, v29
	s_nop 0
	v_cvt_f32_i32_e32 v16, v16
	v_cvt_f32_i32_e32 v17, v17
	v_pk_fma_f32 v[16:17], v[28:29], v[16:17], v[30:31] op_sel_hi:[0,1,0]
	v_add_f32_e32 v16, v90, v16
	v_add_f32_e32 v16, v16, v17
	ds_bpermute_b32 v17, v100, v16
	s_waitcnt lgkmcnt(0)
	v_add_f32_e32 v16, v16, v17
	ds_bpermute_b32 v17, v101, v16
	s_waitcnt lgkmcnt(0)
	v_add_f32_e32 v16, v16, v17
	s_cbranch_vccnz .LBB19_33
; %bb.32:                               ;   in Loop: Header=BB19_17 Depth=1
	global_load_ushort v17, v[18:19], off offset:6
	s_waitcnt vmcnt(0)
	v_fma_mix_f32 v16, v97, v17, v16 op_sel_hi:[0,1,0]
.LBB19_33:                              ;   in Loop: Header=BB19_17 Depth=1
	v_cndmask_b32_e64 v17, v88, v22, s[4:5]
	v_add_f32_e32 v19, 0x40051340, v22
	v_add_f32_e32 v22, 0x40051340, v24
	v_cndmask_b32_e64 v18, v89, v23, s[4:5]
	v_cndmask_b32_e64 v17, v17, v24, s[6:7]
	v_max3_f32 v19, v21, v19, v22
	v_add_f32_e32 v22, 0x40051340, v26
	v_add_f32_e32 v24, 0x40051340, v118
	v_cndmask_b32_e64 v18, v18, v25, s[6:7]
	v_max3_f32 v19, v19, v22, v24
	v_add_f32_e32 v22, 0x40051340, v23
	v_add_f32_e32 v23, 0x40051340, v25
	v_cndmask_b32_e64 v17, v17, v26, s[8:9]
	v_cndmask_b32_e64 v18, v18, v27, s[8:9]
	v_max3_f32 v22, v20, v22, v23
	v_add_f32_e32 v23, 0x40051340, v27
	v_add_f32_e32 v24, 0x40051340, v16
	v_max3_f32 v23, v22, v23, v24
	v_cndmask_b32_e64 v24, v18, v16, s[10:11]
	v_cndmask_b32_e64 v16, v17, v118, s[10:11]
	ds_bpermute_b32 v17, v102, v19
	s_add_i32 s22, s22, s30
	v_lshl_add_u64 v[50:51], v[50:51], 0, s[34:35]
	v_lshl_add_u64 v[52:53], v[52:53], 0, s[54:55]
	;; [unrolled: 1-line block ×3, first 2 shown]
	s_waitcnt lgkmcnt(0)
	v_max_f32_e32 v17, v17, v17
	v_max_f32_e32 v17, v19, v17
	ds_bpermute_b32 v18, v103, v17
	v_lshl_add_u64 v[56:57], v[56:57], 0, s[34:35]
	v_lshl_add_u64 v[58:59], v[58:59], 0, s[34:35]
	;; [unrolled: 1-line block ×4, first 2 shown]
	s_waitcnt lgkmcnt(0)
	v_max_f32_e32 v18, v18, v18
	v_max_f32_e32 v17, v17, v18
	ds_bpermute_b32 v18, v104, v17
	v_lshl_add_u64 v[64:65], v[64:65], 0, s[34:35]
	v_lshl_add_u64 v[68:69], v[68:69], 0, s[34:35]
	;; [unrolled: 1-line block ×4, first 2 shown]
	s_waitcnt lgkmcnt(0)
	v_max_f32_e32 v18, v18, v18
	v_max_f32_e32 v90, v17, v18
	v_sub_f32_e32 v17, v21, v90
	v_mul_f32_e32 v18, 0x3fb8aa3b, v17
	v_fma_f32 v19, v17, s2, -v18
	v_rndne_f32_e32 v21, v18
	v_fmac_f32_e32 v19, 0x32a5705f, v17
	v_sub_f32_e32 v18, v18, v21
	v_add_f32_e32 v18, v18, v19
	v_exp_f32_e32 v18, v18
	v_cvt_i32_f32_e32 v19, v21
	v_cmp_ngt_f32_e32 vcc, s23, v17
	v_sub_f32_e32 v16, v16, v90
	s_cmp_ge_i32 s22, s21
	v_ldexp_f32 v18, v18, v19
	v_cndmask_b32_e32 v18, 0, v18, vcc
	v_cmp_nlt_f32_e32 vcc, s31, v17
	v_mul_f32_e32 v17, 0x3fb8aa3b, v16
	v_rndne_f32_e32 v19, v17
	v_cndmask_b32_e32 v22, v107, v18, vcc
	v_fma_f32 v18, v16, s2, -v17
	v_fmac_f32_e32 v18, 0x32a5705f, v16
	v_sub_f32_e32 v17, v17, v19
	v_add_f32_e32 v17, v17, v18
	v_exp_f32_e32 v17, v17
	v_cvt_i32_f32_e32 v18, v19
	v_cmp_ngt_f32_e32 vcc, s23, v16
	v_ldexp_f32 v17, v17, v18
	s_nop 0
	v_cndmask_b32_e32 v17, 0, v17, vcc
	v_cmp_nlt_f32_e32 vcc, s31, v16
	s_nop 1
	v_cndmask_b32_e32 v88, v107, v17, vcc
	v_cvt_f16_f32_e32 v16, v88
	ds_write_b16 v94, v16
	v_cvt_f16_f32_e32 v16, v22
	v_mul_u32_u24_e32 v21, 0x10001, v16
	scratch_load_dwordx4 v[16:19], off, off
	s_waitcnt vmcnt(0)
	v_pk_mul_f16 v26, v16, v21
	v_pk_mul_f16 v27, v17, v21
	;; [unrolled: 1-line block ×4, first 2 shown]
	scratch_load_dwordx4 v[16:19], off, off offset:16
	s_waitcnt vmcnt(0)
	v_pk_mul_f16 v16, v16, v21
	v_pk_mul_f16 v17, v17, v21
	;; [unrolled: 1-line block ×4, first 2 shown]
	ds_bpermute_b32 v21, v102, v23
	scratch_store_dwordx4 off, v[16:19], off offset:16
	s_waitcnt lgkmcnt(0)
	v_max_f32_e32 v21, v21, v21
	v_max_f32_e32 v21, v23, v21
	ds_bpermute_b32 v23, v103, v21
	s_waitcnt lgkmcnt(0)
	v_max_f32_e32 v23, v23, v23
	v_max_f32_e32 v21, v21, v23
	ds_bpermute_b32 v23, v104, v21
	s_waitcnt lgkmcnt(0)
	v_max_f32_e32 v23, v23, v23
	v_max_f32_e32 v91, v21, v23
	v_sub_f32_e32 v20, v20, v91
	v_mul_f32_e32 v21, 0x3fb8aa3b, v20
	v_fma_f32 v23, v20, s2, -v21
	v_rndne_f32_e32 v25, v21
	v_fmac_f32_e32 v23, 0x32a5705f, v20
	v_sub_f32_e32 v21, v21, v25
	v_add_f32_e32 v21, v21, v23
	v_exp_f32_e32 v21, v21
	v_cvt_i32_f32_e32 v23, v25
	v_cmp_ngt_f32_e32 vcc, s23, v20
	v_ldexp_f32 v21, v21, v23
	s_nop 0
	v_cndmask_b32_e32 v21, 0, v21, vcc
	v_cmp_nlt_f32_e32 vcc, s31, v20
	v_sub_f32_e32 v20, v24, v91
	s_nop 0
	v_cndmask_b32_e32 v23, v107, v21, vcc
	v_mul_f32_e32 v21, 0x3fb8aa3b, v20
	v_fma_f32 v24, v20, s2, -v21
	v_rndne_f32_e32 v25, v21
	v_fmac_f32_e32 v24, 0x32a5705f, v20
	v_sub_f32_e32 v21, v21, v25
	v_add_f32_e32 v21, v21, v24
	v_exp_f32_e32 v21, v21
	v_cvt_i32_f32_e32 v24, v25
	v_cmp_ngt_f32_e32 vcc, s23, v20
	v_ldexp_f32 v21, v21, v24
	s_nop 0
	v_cndmask_b32_e32 v21, 0, v21, vcc
	v_cmp_nlt_f32_e32 vcc, s31, v20
	s_nop 1
	v_cndmask_b32_e32 v89, v107, v21, vcc
	v_cvt_f16_f32_e32 v20, v89
	v_pk_fma_f32 v[32:33], v[32:33], v[22:23], v[88:89]
	ds_write_b16 v94, v20 offset:256
	v_cvt_f16_f32_e32 v20, v23
	v_mul_u32_u24_e32 v30, 0x10001, v20
	scratch_load_dwordx4 v[20:23], off, off offset:32
	s_waitcnt vmcnt(0)
	v_pk_mul_f16 v108, v20, v30
	v_pk_mul_f16 v110, v22, v30
	;; [unrolled: 1-line block ×3, first 2 shown]
	scratch_load_dwordx4 v[22:25], off, off offset:48
	v_pk_mul_f16 v109, v21, v30
	s_waitcnt vmcnt(0)
	v_pk_mul_f16 v21, v22, v30
	v_pk_mul_f16 v22, v23, v30
	;; [unrolled: 1-line block ×3, first 2 shown]
	scratch_store_dwordx4 off, v[20:23], off offset:44
	ds_read_u16 v22, v105 offset:256
	s_waitcnt lgkmcnt(0)
	v_mul_u32_u24_e32 v112, 0x10001, v22
	v_pk_mul_f16 v21, v25, v30
	scratch_store_dword off, v21, off offset:60
	ds_read_u16 v21, v105
	v_lshl_add_u64 v[30:31], v[66:67], 0, s[26:27]
	global_load_dwordx4 v[22:25], v[30:31], off
	v_lshl_add_u64 v[66:67], v[66:67], 0, s[36:37]
	s_waitcnt lgkmcnt(0)
	v_mul_u32_u24_e32 v21, 0x10001, v21
	s_waitcnt vmcnt(0)
	v_lshlrev_b32_e32 v111, 16, v22
	v_and_b32_e32 v22, 0xffff0000, v22
	v_lshlrev_b32_e32 v113, 16, v23
	v_and_b32_e32 v23, 0xffff0000, v23
	;; [unrolled: 2-line block ×3, first 2 shown]
	v_cvt_pk_f16_f32 v111, v111, v22
	v_cvt_pk_f16_f32 v113, v113, v23
	;; [unrolled: 1-line block ×3, first 2 shown]
	v_pk_fma_f16 v22, v111, v21, v26
	v_pk_fma_f16 v26, v111, v112, v108
	;; [unrolled: 1-line block ×6, first 2 shown]
	global_load_dwordx4 v[108:111], v[30:31], off offset:128
	v_lshlrev_b32_e32 v115, 16, v25
	v_and_b32_e32 v25, 0xffff0000, v25
	v_cvt_pk_f16_f32 v115, v115, v25
	v_pk_fma_f16 v25, v115, v21, v29
	v_pk_fma_f16 v29, v115, v112, v20
	scratch_store_dwordx4 off, v[22:25], off
	scratch_store_dwordx4 off, v[26:29], off offset:32
	s_waitcnt vmcnt(2)
	v_lshlrev_b32_e32 v20, 16, v108
	v_and_b32_e32 v30, 0xffff0000, v108
	v_lshlrev_b32_e32 v31, 16, v109
	v_and_b32_e32 v108, 0xffff0000, v109
	;; [unrolled: 2-line block ×4, first 2 shown]
	v_cvt_pk_f16_f32 v20, v20, v30
	v_cvt_pk_f16_f32 v30, v31, v108
	;; [unrolled: 1-line block ×4, first 2 shown]
	scratch_load_dwordx4 v[108:111], off, off offset:48
	v_pk_fma_f16 v17, v30, v21, v17
	v_pk_fma_f16 v18, v31, v21, v18
	;; [unrolled: 1-line block ×4, first 2 shown]
	scratch_store_dwordx4 off, v[16:19], off offset:16
	s_waitcnt vmcnt(1)
	v_pk_fma_f16 v109, v30, v112, v109
	v_pk_fma_f16 v110, v31, v112, v110
	v_lshl_add_u64 v[30:31], v[74:75], 0, s[26:27]
	v_pk_fma_f16 v108, v20, v112, v108
	v_pk_fma_f16 v111, v113, v112, v111
	global_load_dwordx4 v[112:115], v[30:31], off
	ds_read_u16 v20, v106 offset:8
	scratch_store_dwordx4 off, v[108:111], off offset:48
	v_lshl_add_u64 v[74:75], v[74:75], 0, s[36:37]
	s_waitcnt lgkmcnt(0)
	v_mul_u32_u24_e32 v116, 0x10001, v20
	ds_read_u16 v20, v106 offset:264
	s_waitcnt lgkmcnt(0)
	v_mul_u32_u24_e32 v117, 0x10001, v20
	s_waitcnt vmcnt(1)
	v_lshlrev_b32_e32 v20, 16, v112
	v_and_b32_e32 v21, 0xffff0000, v112
	v_lshlrev_b32_e32 v112, 16, v113
	v_and_b32_e32 v113, 0xffff0000, v113
	;; [unrolled: 2-line block ×4, first 2 shown]
	v_cvt_pk_f16_f32 v21, v20, v21
	v_cvt_pk_f16_f32 v112, v112, v113
	v_cvt_pk_f16_f32 v113, v118, v114
	v_cvt_pk_f16_f32 v114, v119, v115
	v_pk_fma_f16 v20, v21, v116, v22
	v_pk_fma_f16 v26, v21, v117, v26
	;; [unrolled: 1-line block ×8, first 2 shown]
	global_load_dwordx4 v[112:115], v[30:31], off offset:128
	s_waitcnt vmcnt(0)
	v_lshlrev_b32_e32 v24, 16, v112
	v_and_b32_e32 v25, 0xffff0000, v112
	v_lshlrev_b32_e32 v30, 16, v113
	v_and_b32_e32 v31, 0xffff0000, v113
	;; [unrolled: 2-line block ×4, first 2 shown]
	v_cvt_pk_f16_f32 v24, v24, v25
	v_cvt_pk_f16_f32 v25, v30, v31
	;; [unrolled: 1-line block ×4, first 2 shown]
	v_pk_fma_f16 v18, v30, v116, v18
	v_pk_fma_f16 v110, v30, v117, v110
	;; [unrolled: 1-line block ×4, first 2 shown]
	v_lshl_add_u64 v[30:31], v[78:79], 0, s[26:27]
	global_load_dwordx4 v[112:115], v[30:31], off
	v_pk_fma_f16 v16, v24, v116, v16
	v_pk_fma_f16 v108, v24, v117, v108
	ds_read_u16 v24, v106 offset:16
	v_pk_fma_f16 v17, v25, v116, v17
	v_pk_fma_f16 v109, v25, v117, v109
	scratch_store_dwordx4 off, v[20:23], off
	scratch_store_dwordx4 off, v[26:29], off offset:32
	s_waitcnt lgkmcnt(0)
	v_mul_u32_u24_e32 v116, 0x10001, v24
	ds_read_u16 v24, v106 offset:272
	scratch_store_dwordx4 off, v[16:19], off offset:16
	scratch_store_dwordx4 off, v[108:111], off offset:48
	v_lshl_add_u64 v[78:79], v[78:79], 0, s[36:37]
	s_waitcnt lgkmcnt(0)
	v_mul_u32_u24_e32 v117, 0x10001, v24
	s_waitcnt vmcnt(4)
	v_lshlrev_b32_e32 v24, 16, v112
	v_and_b32_e32 v25, 0xffff0000, v112
	v_lshlrev_b32_e32 v112, 16, v113
	v_and_b32_e32 v113, 0xffff0000, v113
	;; [unrolled: 2-line block ×4, first 2 shown]
	v_cvt_pk_f16_f32 v24, v24, v25
	v_cvt_pk_f16_f32 v25, v112, v113
	;; [unrolled: 1-line block ×4, first 2 shown]
	v_pk_fma_f16 v20, v24, v116, v20
	v_pk_fma_f16 v24, v24, v117, v26
	;; [unrolled: 1-line block ×6, first 2 shown]
	global_load_dwordx4 v[28:31], v[30:31], off offset:128
	v_pk_fma_f16 v22, v112, v116, v22
	v_pk_fma_f16 v23, v113, v116, v23
	scratch_store_dwordx4 off, v[20:23], off
	scratch_store_dwordx4 off, v[24:27], off offset:32
	s_waitcnt vmcnt(2)
	v_lshlrev_b32_e32 v112, 16, v28
	v_and_b32_e32 v28, 0xffff0000, v28
	v_cvt_pk_f16_f32 v28, v112, v28
	v_pk_fma_f16 v16, v28, v116, v16
	v_pk_fma_f16 v28, v28, v117, v108
	ds_read_u16 v108, v106 offset:24
	v_lshlrev_b32_e32 v114, 16, v30
	v_and_b32_e32 v30, 0xffff0000, v30
	v_cvt_pk_f16_f32 v30, v114, v30
	v_lshlrev_b32_e32 v113, 16, v29
	s_waitcnt lgkmcnt(0)
	v_mul_u32_u24_e32 v114, 0x10001, v108
	ds_read_u16 v108, v106 offset:280
	v_and_b32_e32 v29, 0xffff0000, v29
	v_lshlrev_b32_e32 v115, 16, v31
	v_and_b32_e32 v31, 0xffff0000, v31
	v_cvt_pk_f16_f32 v29, v113, v29
	v_cvt_pk_f16_f32 v31, v115, v31
	v_lshl_add_u64 v[112:113], v[82:83], 0, s[26:27]
	v_pk_fma_f16 v17, v29, v116, v17
	v_pk_fma_f16 v29, v29, v117, v109
	;; [unrolled: 1-line block ×6, first 2 shown]
	s_waitcnt lgkmcnt(0)
	v_mul_u32_u24_e32 v115, 0x10001, v108
	global_load_dwordx4 v[108:111], v[112:113], off
	v_lshl_add_u64 v[82:83], v[82:83], 0, s[36:37]
	scratch_store_dwordx4 off, v[16:19], off offset:16
	scratch_store_dwordx4 off, v[28:31], off offset:48
	s_waitcnt vmcnt(2)
	v_lshlrev_b32_e32 v116, 16, v108
	v_and_b32_e32 v108, 0xffff0000, v108
	v_lshlrev_b32_e32 v117, 16, v109
	v_and_b32_e32 v109, 0xffff0000, v109
	v_lshlrev_b32_e32 v118, 16, v110
	v_and_b32_e32 v110, 0xffff0000, v110
	v_lshlrev_b32_e32 v119, 16, v111
	v_and_b32_e32 v111, 0xffff0000, v111
	v_cvt_pk_f16_f32 v108, v116, v108
	v_cvt_pk_f16_f32 v109, v117, v109
	v_cvt_pk_f16_f32 v110, v118, v110
	v_cvt_pk_f16_f32 v111, v119, v111
	v_pk_fma_f16 v20, v108, v114, v20
	v_pk_fma_f16 v24, v108, v115, v24
	v_pk_fma_f16 v21, v109, v114, v21
	v_pk_fma_f16 v25, v109, v115, v25
	v_pk_fma_f16 v22, v110, v114, v22
	v_pk_fma_f16 v26, v110, v115, v26
	v_pk_fma_f16 v23, v111, v114, v23
	v_pk_fma_f16 v27, v111, v115, v27
	global_load_dwordx4 v[108:111], v[112:113], off offset:128
	s_waitcnt vmcnt(0)
	v_lshlrev_b32_e32 v112, 16, v108
	v_and_b32_e32 v108, 0xffff0000, v108
	v_cvt_pk_f16_f32 v108, v112, v108
	v_pk_fma_f16 v16, v108, v114, v16
	v_pk_fma_f16 v28, v108, v115, v28
	ds_read_u16 v108, v105 offset:32
	v_lshlrev_b32_e32 v113, 16, v109
	v_and_b32_e32 v109, 0xffff0000, v109
	v_lshlrev_b32_e32 v116, 16, v110
	v_and_b32_e32 v110, 0xffff0000, v110
	v_lshlrev_b32_e32 v117, 16, v111
	v_and_b32_e32 v111, 0xffff0000, v111
	v_cvt_pk_f16_f32 v109, v113, v109
	v_cvt_pk_f16_f32 v110, v116, v110
	v_cvt_pk_f16_f32 v111, v117, v111
	v_pk_fma_f16 v17, v109, v114, v17
	v_pk_fma_f16 v18, v110, v114, v18
	v_pk_fma_f16 v19, v111, v114, v19
	s_waitcnt lgkmcnt(0)
	v_mul_u32_u24_e32 v114, 0x10001, v108
	ds_read_u16 v108, v105 offset:288
	v_lshl_add_u64 v[112:113], v[86:87], 0, s[26:27]
	v_pk_fma_f16 v29, v109, v115, v29
	v_pk_fma_f16 v30, v110, v115, v30
	v_pk_fma_f16 v31, v111, v115, v31
	s_waitcnt lgkmcnt(0)
	v_mul_u32_u24_e32 v115, 0x10001, v108
	global_load_dwordx4 v[108:111], v[112:113], off
	v_lshl_add_u64 v[86:87], v[86:87], 0, s[36:37]
	scratch_store_dwordx4 off, v[20:23], off
	scratch_store_dwordx4 off, v[24:27], off offset:32
	scratch_store_dwordx4 off, v[16:19], off offset:16
	scratch_store_dwordx4 off, v[28:31], off offset:48
	s_waitcnt vmcnt(4)
	v_lshlrev_b32_e32 v116, 16, v108
	v_and_b32_e32 v108, 0xffff0000, v108
	v_lshlrev_b32_e32 v117, 16, v109
	v_and_b32_e32 v109, 0xffff0000, v109
	v_lshlrev_b32_e32 v118, 16, v110
	v_and_b32_e32 v110, 0xffff0000, v110
	v_lshlrev_b32_e32 v119, 16, v111
	v_and_b32_e32 v111, 0xffff0000, v111
	v_cvt_pk_f16_f32 v108, v116, v108
	v_cvt_pk_f16_f32 v109, v117, v109
	v_cvt_pk_f16_f32 v110, v118, v110
	v_cvt_pk_f16_f32 v111, v119, v111
	v_pk_fma_f16 v20, v108, v114, v20
	v_pk_fma_f16 v24, v108, v115, v24
	v_pk_fma_f16 v21, v109, v114, v21
	v_pk_fma_f16 v25, v109, v115, v25
	v_pk_fma_f16 v22, v110, v114, v22
	v_pk_fma_f16 v26, v110, v115, v26
	v_pk_fma_f16 v23, v111, v114, v23
	v_pk_fma_f16 v27, v111, v115, v27
	global_load_dwordx4 v[108:111], v[112:113], off offset:128
	s_waitcnt vmcnt(0)
	v_lshlrev_b32_e32 v112, 16, v108
	v_and_b32_e32 v108, 0xffff0000, v108
	v_cvt_pk_f16_f32 v108, v112, v108
	v_pk_fma_f16 v16, v108, v114, v16
	v_pk_fma_f16 v28, v108, v115, v28
	ds_read_u16 v108, v106 offset:40
	v_lshlrev_b32_e32 v113, 16, v109
	v_and_b32_e32 v109, 0xffff0000, v109
	v_lshlrev_b32_e32 v116, 16, v110
	v_and_b32_e32 v110, 0xffff0000, v110
	v_lshlrev_b32_e32 v117, 16, v111
	v_and_b32_e32 v111, 0xffff0000, v111
	v_cvt_pk_f16_f32 v109, v113, v109
	v_cvt_pk_f16_f32 v110, v116, v110
	v_cvt_pk_f16_f32 v111, v117, v111
	v_pk_fma_f16 v17, v109, v114, v17
	v_pk_fma_f16 v18, v110, v114, v18
	v_pk_fma_f16 v19, v111, v114, v19
	s_waitcnt lgkmcnt(0)
	v_mul_u32_u24_e32 v114, 0x10001, v108
	ds_read_u16 v108, v106 offset:296
	v_lshl_add_u64 v[112:113], v[84:85], 0, s[26:27]
	v_pk_fma_f16 v29, v109, v115, v29
	v_pk_fma_f16 v30, v110, v115, v30
	v_pk_fma_f16 v31, v111, v115, v31
	s_waitcnt lgkmcnt(0)
	v_mul_u32_u24_e32 v115, 0x10001, v108
	global_load_dwordx4 v[108:111], v[112:113], off
	v_lshl_add_u64 v[84:85], v[84:85], 0, s[36:37]
	scratch_store_dwordx4 off, v[20:23], off
	scratch_store_dwordx4 off, v[24:27], off offset:32
	;; [unrolled: 56-line block ×3, first 2 shown]
	scratch_store_dwordx4 off, v[108:111], off offset:48
	scratch_store_dwordx4 off, v[24:27], off offset:32
	s_waitcnt vmcnt(4)
	v_lshlrev_b32_e32 v116, 16, v28
	v_and_b32_e32 v28, 0xffff0000, v28
	v_lshlrev_b32_e32 v117, 16, v29
	v_and_b32_e32 v29, 0xffff0000, v29
	;; [unrolled: 2-line block ×4, first 2 shown]
	v_cvt_pk_f16_f32 v116, v116, v28
	v_cvt_pk_f16_f32 v117, v117, v29
	;; [unrolled: 1-line block ×4, first 2 shown]
	v_pk_fma_f16 v28, v116, v114, v20
	v_pk_fma_f16 v29, v117, v114, v21
	;; [unrolled: 1-line block ×4, first 2 shown]
	global_load_dwordx4 v[20:23], v[112:113], off offset:128
	v_pk_fma_f16 v24, v116, v115, v24
	v_pk_fma_f16 v25, v117, v115, v25
	;; [unrolled: 1-line block ×4, first 2 shown]
	scratch_store_dwordx4 off, v[24:27], off offset:32
	scratch_store_dwordx4 off, v[28:31], off
	s_waitcnt vmcnt(2)
	v_lshlrev_b32_e32 v112, 16, v20
	v_and_b32_e32 v20, 0xffff0000, v20
	v_cvt_pk_f16_f32 v112, v112, v20
	v_pk_fma_f16 v20, v112, v114, v16
	v_pk_fma_f16 v16, v112, v115, v108
	ds_read_u16 v108, v106 offset:56
	v_lshlrev_b32_e32 v113, 16, v21
	v_and_b32_e32 v21, 0xffff0000, v21
	v_lshlrev_b32_e32 v116, 16, v22
	v_and_b32_e32 v22, 0xffff0000, v22
	;; [unrolled: 2-line block ×3, first 2 shown]
	v_cvt_pk_f16_f32 v113, v113, v21
	v_cvt_pk_f16_f32 v116, v116, v22
	;; [unrolled: 1-line block ×3, first 2 shown]
	v_pk_fma_f16 v21, v113, v114, v17
	v_pk_fma_f16 v22, v116, v114, v18
	;; [unrolled: 1-line block ×3, first 2 shown]
	s_waitcnt lgkmcnt(0)
	v_mul_u32_u24_e32 v114, 0x10001, v108
	ds_read_u16 v108, v106 offset:312
	v_pk_fma_f16 v17, v113, v115, v109
	v_lshl_add_u64 v[112:113], v[76:77], 0, s[26:27]
	v_pk_fma_f16 v18, v116, v115, v110
	v_pk_fma_f16 v19, v117, v115, v111
	s_waitcnt lgkmcnt(0)
	v_mul_u32_u24_e32 v115, 0x10001, v108
	global_load_dwordx4 v[108:111], v[112:113], off
	v_lshl_add_u64 v[76:77], v[76:77], 0, s[36:37]
	scratch_store_dwordx4 off, v[20:23], off offset:16
	scratch_store_dwordx4 off, v[16:19], off offset:48
	s_waitcnt vmcnt(2)
	v_lshlrev_b32_e32 v116, 16, v108
	v_and_b32_e32 v108, 0xffff0000, v108
	v_lshlrev_b32_e32 v117, 16, v109
	v_and_b32_e32 v109, 0xffff0000, v109
	;; [unrolled: 2-line block ×4, first 2 shown]
	v_cvt_pk_f16_f32 v108, v116, v108
	v_cvt_pk_f16_f32 v109, v117, v109
	;; [unrolled: 1-line block ×4, first 2 shown]
	v_pk_fma_f16 v24, v108, v115, v24
	v_pk_fma_f16 v25, v109, v115, v25
	;; [unrolled: 1-line block ×4, first 2 shown]
	scratch_store_dwordx4 off, v[24:27], off offset:32
	global_load_dwordx4 v[24:27], v[112:113], off offset:128
	v_pk_fma_f16 v28, v108, v114, v28
	v_pk_fma_f16 v29, v109, v114, v29
	;; [unrolled: 1-line block ×4, first 2 shown]
	scratch_store_dwordx4 off, v[28:31], off
	s_waitcnt vmcnt(1)
	s_nop 0
	v_lshlrev_b32_e32 v28, 16, v24
	v_and_b32_e32 v24, 0xffff0000, v24
	v_lshlrev_b32_e32 v29, 16, v25
	v_and_b32_e32 v25, 0xffff0000, v25
	;; [unrolled: 2-line block ×4, first 2 shown]
	v_cvt_pk_f16_f32 v24, v28, v24
	v_cvt_pk_f16_f32 v25, v29, v25
	;; [unrolled: 1-line block ×4, first 2 shown]
	v_pk_fma_f16 v20, v24, v114, v20
	v_pk_fma_f16 v16, v24, v115, v16
	;; [unrolled: 1-line block ×8, first 2 shown]
	scratch_store_dwordx4 off, v[20:23], off offset:16
	scratch_store_dwordx4 off, v[16:19], off offset:48
	s_cbranch_scc1 .LBB19_36
; %bb.34:                               ;   in Loop: Header=BB19_17 Depth=1
	v_mov_b32_e32 v21, v90
	v_mov_b32_e32 v20, v91
	s_branch .LBB19_17
.LBB19_35:
	v_mov_b32_e32 v90, 0xfeffffff
	v_mov_b32_e32 v91, v90
	;; [unrolled: 1-line block ×3, first 2 shown]
.LBB19_36:
	s_cmp_eq_u64 s[44:45], 0
	s_cselect_b64 s[4:5], -1, 0
	s_cmp_lg_u32 s3, 0
	s_cselect_b64 s[6:7], -1, 0
	s_or_b64 s[4:5], s[6:7], s[4:5]
	s_nor_b64 s[4:5], s[4:5], s[16:17]
	s_and_saveexec_b64 s[8:9], s[4:5]
	s_cbranch_execz .LBB19_38
; %bb.37:
	scratch_load_dwordx4 v[0:3], v99, off
	scratch_load_dwordx4 v[4:7], v99, off offset:16
	s_ashr_i32 s21, s20, 31
	s_lshl_b64 s[4:5], s[20:21], 2
	s_add_u32 s4, s44, s4
	s_addc_u32 s5, s45, s5
	s_load_dword s4, s[4:5], 0x0
	v_cmp_eq_u32_e32 vcc, 1, v95
	s_mov_b32 s2, 0x3fb8aa3b
	s_mov_b32 s10, 0xc2ce8ed0
	v_cndmask_b32_e32 v8, v90, v91, vcc
	v_max_f32_e32 v10, v8, v8
	s_waitcnt lgkmcnt(0)
	v_max_f32_e64 v12, s4, s4
	v_max_f32_e32 v10, v12, v10
	v_sub_f32_e32 v8, v8, v10
	v_sub_f32_e32 v12, s4, v10
	v_mul_f32_e32 v13, 0x3fb8aa3b, v8
	v_mul_f32_e32 v14, 0x3fb8aa3b, v12
	v_fma_f32 v15, v8, s2, -v13
	v_rndne_f32_e32 v16, v13
	v_fma_f32 v17, v12, s2, -v14
	v_rndne_f32_e32 v18, v14
	v_fmac_f32_e32 v15, 0x32a5705f, v8
	v_sub_f32_e32 v13, v13, v16
	v_fmac_f32_e32 v17, 0x32a5705f, v12
	v_sub_f32_e32 v14, v14, v18
	v_add_f32_e32 v13, v13, v15
	v_cvt_i32_f32_e32 v16, v16
	v_add_f32_e32 v14, v14, v17
	v_exp_f32_e32 v13, v13
	v_cvt_i32_f32_e32 v18, v18
	v_exp_f32_e32 v14, v14
	v_cmp_eq_u32_e64 s[4:5], 0, v95
	v_cndmask_b32_e32 v91, v91, v10, vcc
	v_cmp_ngt_f32_e64 s[6:7], s10, v8
	v_cndmask_b32_e64 v90, v90, v10, s[4:5]
	v_ldexp_f32 v10, v13, v16
	s_mov_b32 s11, 0x42b17218
	v_ldexp_f32 v13, v14, v18
	v_cndmask_b32_e64 v10, 0, v10, s[6:7]
	v_cmp_ngt_f32_e64 s[6:7], s10, v12
	v_mov_b32_e32 v9, 0x7f800000
	v_cndmask_b32_e32 v11, v32, v33, vcc
	v_cndmask_b32_e64 v13, 0, v13, s[6:7]
	v_cmp_nlt_f32_e64 s[6:7], s11, v8
	s_nop 1
	v_cndmask_b32_e64 v8, v9, v10, s[6:7]
	v_cvt_f16_f32_e32 v10, v8
	v_cmp_nlt_f32_e64 s[6:7], s11, v12
	s_nop 1
	v_cndmask_b32_e64 v9, v9, v13, s[6:7]
	v_cmp_eq_u32_e64 s[6:7], 0, v92
	s_nop 1
	v_cndmask_b32_e64 v9, 0, v9, s[6:7]
	v_fmac_f32_e32 v9, v11, v8
	v_mul_u32_u24_e32 v8, 0x10001, v10
	v_cndmask_b32_e32 v33, v33, v9, vcc
	v_cndmask_b32_e64 v32, v32, v9, s[4:5]
	s_waitcnt vmcnt(1)
	v_pk_mul_f16 v0, v0, v8
	v_pk_mul_f16 v1, v1, v8
	;; [unrolled: 1-line block ×4, first 2 shown]
	s_waitcnt vmcnt(0)
	v_pk_mul_f16 v4, v4, v8
	v_pk_mul_f16 v5, v5, v8
	v_pk_mul_f16 v6, v6, v8
	v_pk_mul_f16 v7, v7, v8
	scratch_store_dwordx4 v99, v[0:3], off
	scratch_store_dwordx4 v99, v[4:7], off offset:16
.LBB19_38:
	s_or_b64 exec, exec, s[8:9]
	v_cmp_eq_u32_e32 vcc, 0, v95
	v_add_u32_e32 v4, 0x1100, v96
	v_or_b32_e32 v10, 0x1000, v96
	s_and_saveexec_b64 s[4:5], vcc
	s_cbranch_execz .LBB19_40
; %bb.39:
	v_mov_b32_e32 v0, 0xfeffffff
	v_mov_b32_e32 v1, 0
	ds_write2_b32 v10, v0, v0 offset1:32
	ds_write2_b32 v4, v1, v1 offset1:32
.LBB19_40:
	s_or_b64 exec, exec, s[4:5]
	v_cmp_eq_u32_e64 s[4:5], 0, v92
	s_waitcnt lgkmcnt(0)
	s_barrier
	s_and_saveexec_b64 s[6:7], s[4:5]
; %bb.41:
	v_lshlrev_b32_e32 v0, 2, v95
	v_add_u32_e32 v0, 0x1000, v0
	ds_write2_b32 v0, v90, v91 offset1:32
; %bb.42:
	s_or_b64 exec, exec, s[6:7]
	s_cmp_lt_i32 s33, s18
	s_waitcnt lgkmcnt(0)
	s_barrier
	s_cbranch_scc1 .LBB19_44
; %bb.43:
	s_add_u32 s6, s0, 0xd0
	s_addc_u32 s7, s1, 0
	s_mul_i32 s62, s62, s18
	s_cbranch_execz .LBB19_45
	s_branch .LBB19_53
.LBB19_44:
                                        ; implicit-def: $sgpr6_sgpr7
	s_mul_i32 s62, s62, s18
.LBB19_45:
	v_mbcnt_hi_u32_b32 v0, -1, v98
	ds_read_b32 v3, v10
	v_and_b32_e32 v5, 0x60, v0
	scratch_load_dwordx4 v[14:17], off, off
	scratch_load_dwordx4 v[18:21], off, off offset:16
	v_xor_b32_e32 v6, 16, v0
	v_add_u32_e32 v8, 32, v5
	v_cmp_lt_i32_e32 vcc, v6, v8
	v_xor_b32_e32 v7, 8, v0
	v_xor_b32_e32 v12, 1, v0
	v_cndmask_b32_e32 v5, v0, v6, vcc
	v_lshlrev_b32_e32 v9, 2, v5
	s_waitcnt lgkmcnt(0)
	ds_bpermute_b32 v6, v9, v3
	v_cmp_lt_i32_e32 vcc, v7, v8
	v_max_f32_e32 v3, v3, v3
	s_mov_b32 s2, 0x3fb8aa3b
	v_cndmask_b32_e32 v5, v0, v7, vcc
	s_waitcnt lgkmcnt(0)
	v_max_f32_e32 v6, v6, v6
	v_lshlrev_b32_e32 v5, 2, v5
	v_max_f32_e32 v3, v3, v6
	ds_bpermute_b32 v7, v5, v3
	v_xor_b32_e32 v6, 4, v0
	v_cmp_lt_i32_e32 vcc, v6, v8
	s_mov_b32 s7, 0x42b17218
	v_mov_b32_e32 v1, 0x1100
	v_cndmask_b32_e32 v6, v0, v6, vcc
	s_waitcnt lgkmcnt(0)
	v_max_f32_e32 v7, v7, v7
	v_lshlrev_b32_e32 v6, 2, v6
	v_max_f32_e32 v3, v3, v7
	ds_bpermute_b32 v11, v6, v3
	v_xor_b32_e32 v7, 2, v0
	v_cmp_lt_i32_e32 vcc, v7, v8
	v_lshlrev_b32_e32 v2, 5, v92
	s_movk_i32 s8, 0x70
	v_cndmask_b32_e32 v7, v0, v7, vcc
	s_waitcnt lgkmcnt(0)
	v_max_f32_e32 v11, v11, v11
	v_lshlrev_b32_e32 v7, 2, v7
	v_max_f32_e32 v3, v3, v11
	ds_bpermute_b32 v11, v7, v3
	v_cmp_lt_i32_e32 vcc, v12, v8
	s_add_u32 s6, s0, 0xd0
	s_nop 0
	v_cndmask_b32_e32 v0, v0, v12, vcc
	v_lshlrev_b32_e32 v8, 2, v0
	s_waitcnt lgkmcnt(0)
	v_max_f32_e32 v0, v11, v11
	v_max_f32_e32 v0, v3, v0
	ds_bpermute_b32 v3, v8, v0
	v_lshlrev_b32_e32 v12, 4, v92
	s_waitcnt lgkmcnt(0)
	v_max_f32_e32 v3, v3, v3
	v_max_f32_e32 v0, v0, v3
	v_sub_f32_e32 v3, v90, v0
	v_mul_f32_e32 v11, 0x3fb8aa3b, v3
	v_fma_f32 v13, v3, s2, -v11
	v_rndne_f32_e32 v22, v11
	v_fmamk_f32 v13, v3, 0x32a5705f, v13
	v_sub_f32_e32 v11, v11, v22
	v_add_f32_e32 v11, v11, v13
	v_cvt_i32_f32_e32 v22, v22
	v_exp_f32_e32 v11, v11
	s_mov_b32 s2, 0xc2ce8ed0
	v_cmp_ngt_f32_e32 vcc, s2, v3
	v_mov_b32_e32 v13, 0x7f800000
	v_ldexp_f32 v11, v11, v22
	v_cndmask_b32_e32 v11, 0, v11, vcc
	v_cmp_nlt_f32_e32 vcc, s7, v3
	s_load_dword s2, s[0:1], 0xd4
	s_addc_u32 s7, s1, 0
	v_cndmask_b32_e32 v3, v13, v11, vcc
	v_mul_f32_e32 v11, v32, v3
	ds_bpermute_b32 v13, v9, v11
	v_lshl_add_u32 v11, v95, 2, v1
	v_and_b32_e32 v1, 0xf00, v2
	v_cvt_f16_f32_e32 v2, v3
	v_lshl_add_u32 v1, v95, 10, v1
	s_waitcnt lgkmcnt(0)
	v_fmac_f32_e32 v13, v32, v3
	ds_bpermute_b32 v3, v5, v13
	v_and_or_b32 v12, v12, s8, v1
	v_mul_u32_u24_e32 v22, 0x10001, v2
	s_waitcnt lgkmcnt(0)
	v_add_f32_e32 v1, v13, v3
	ds_bpermute_b32 v2, v6, v1
	s_waitcnt vmcnt(1)
	v_pk_mul_f16 v14, v14, v22
	v_pk_mul_f16 v15, v15, v22
	;; [unrolled: 1-line block ×4, first 2 shown]
	s_waitcnt lgkmcnt(0)
	v_add_f32_e32 v1, v1, v2
	ds_bpermute_b32 v2, v7, v1
	s_waitcnt vmcnt(0)
	v_pk_mul_f16 v18, v18, v22
	v_pk_mul_f16 v19, v19, v22
	;; [unrolled: 1-line block ×4, first 2 shown]
	s_waitcnt lgkmcnt(0)
	v_add_f32_e32 v1, v1, v2
	ds_bpermute_b32 v2, v8, v1
	scratch_store_dwordx4 off, v[14:17], off
	scratch_store_dwordx4 off, v[18:21], off offset:16
	ds_write_b128 v12, v[14:17]
	ds_write_b128 v12, v[18:21] offset:128
	s_and_saveexec_b64 s[0:1], s[4:5]
	s_cbranch_execz .LBB19_47
; %bb.46:
	s_waitcnt lgkmcnt(2)
	v_add_f32_e32 v1, v1, v2
	ds_write_b32 v11, v1
.LBB19_47:
	s_or_b64 exec, exec, s[0:1]
	s_waitcnt lgkmcnt(0)
	s_barrier
	ds_read_b32 v3, v4
	ds_read_u16 v1, v94
	ds_read_u16 v2, v94 offset:256
	ds_read_u16 v13, v94 offset:512
	;; [unrolled: 1-line block ×6, first 2 shown]
	s_waitcnt lgkmcnt(6)
	v_cvt_f32_f16_e32 v1, v1
	s_waitcnt lgkmcnt(5)
	v_cvt_f32_f16_e32 v2, v2
	;; [unrolled: 2-line block ×4, first 2 shown]
	v_add_f32_e32 v1, 0, v1
	v_add_f32_e32 v1, v1, v2
	s_waitcnt lgkmcnt(2)
	v_cvt_f32_f16_e32 v2, v16
	v_add_f32_e32 v1, v1, v13
	s_waitcnt lgkmcnt(1)
	v_cvt_f32_f16_e32 v13, v17
	;; [unrolled: 3-line block ×3, first 2 shown]
	ds_read_u16 v16, v94 offset:1792
	ds_read_u16 v17, v94 offset:2048
	;; [unrolled: 1-line block ×8, first 2 shown]
	s_waitcnt lgkmcnt(7)
	v_cvt_f32_f16_e32 v16, v16
	v_add_f32_e32 v1, v1, v2
	v_add_f32_e32 v1, v1, v13
	s_waitcnt lgkmcnt(6)
	v_cvt_f32_f16_e32 v2, v17
	v_add_f32_e32 v1, v1, v14
	s_waitcnt lgkmcnt(5)
	v_cvt_f32_f16_e32 v13, v18
	ds_bpermute_b32 v15, v9, v3
	v_add_f32_e32 v1, v1, v16
	s_waitcnt lgkmcnt(5)
	v_cvt_f32_f16_e32 v16, v19
	s_waitcnt lgkmcnt(4)
	v_cvt_f32_f16_e32 v14, v20
	v_add_f32_e32 v1, v1, v2
	v_add_f32_e32 v1, v1, v13
	;; [unrolled: 1-line block ×3, first 2 shown]
	s_waitcnt lgkmcnt(0)
	v_pk_add_f32 v[2:3], v[2:3], v[14:15]
	ds_bpermute_b32 v15, v5, v3
	v_cvt_f32_f16_e32 v14, v21
	ds_read_u16 v1, v94 offset:3840
	s_cmp_eq_u32 s2, 1
	s_waitcnt lgkmcnt(1)
	v_pk_add_f32 v[2:3], v[2:3], v[14:15]
	ds_bpermute_b32 v15, v6, v3
	v_cvt_f32_f16_e32 v14, v22
	s_waitcnt lgkmcnt(0)
	v_pk_add_f32 v[2:3], v[2:3], v[14:15]
	ds_bpermute_b32 v15, v7, v3
	v_cvt_f32_f16_e32 v14, v23
	;; [unrolled: 4-line block ×3, first 2 shown]
	s_waitcnt lgkmcnt(0)
	v_pk_add_f32 v[2:3], v[2:3], v[14:15]
	s_nop 0
	v_div_scale_f32 v1, s[0:1], v3, v3, v2
	v_rcp_f32_e32 v13, v1
	s_cselect_b64 s[0:1], -1, 0
	s_add_i32 s8, s33, s62
	s_mul_i32 s10, s8, s19
	v_fma_f32 v14, -v1, v13, 1.0
	v_fmac_f32_e32 v13, v14, v13
	v_div_scale_f32 v14, vcc, v2, v3, v2
	v_mul_f32_e32 v15, v14, v13
	v_fma_f32 v16, -v1, v15, v14
	v_fmac_f32_e32 v15, v16, v13
	s_add_i32 s10, s10, s20
	v_fma_f32 v1, -v1, v15, v14
	s_mul_i32 s8, s2, s10
	v_div_fmas_f32 v1, v1, v13, v15
	s_add_i32 s8, s8, s3
	v_div_fixup_f32 v13, v1, v3, v2
	v_lshl_or_b32 v14, s8, 7, v93
	v_mov_b32_e32 v15, 0
	s_or_b32 s8, s33, 1
	v_lshl_add_u64 v[14:15], v[14:15], 2, s[48:49]
	v_cndmask_b32_e64 v2, v2, v13, s[0:1]
	s_cmp_ge_i32 s8, s18
	global_store_dword v[14:15], v2, off
	s_barrier
	s_cbranch_scc1 .LBB19_51
; %bb.48:
	ds_read_b32 v1, v10 offset:128
	scratch_load_dwordx4 v[14:17], off, off offset:32
	scratch_load_dwordx4 v[18:21], off, off offset:48
	s_mov_b32 s8, 0x3fb8aa3b
	s_mov_b32 s9, 0x42b17218
	s_waitcnt lgkmcnt(0)
	ds_bpermute_b32 v2, v9, v1
	v_max_f32_e32 v1, v1, v1
	s_waitcnt lgkmcnt(0)
	v_max_f32_e32 v2, v2, v2
	v_max_f32_e32 v1, v1, v2
	ds_bpermute_b32 v2, v5, v1
	s_waitcnt lgkmcnt(0)
	v_max_f32_e32 v2, v2, v2
	v_max_f32_e32 v1, v1, v2
	ds_bpermute_b32 v2, v6, v1
	;; [unrolled: 4-line block ×4, first 2 shown]
	s_waitcnt lgkmcnt(0)
	v_max_f32_e32 v2, v2, v2
	v_max_f32_e32 v1, v1, v2
	v_sub_f32_e32 v2, v91, v1
	v_mul_f32_e32 v10, 0x3fb8aa3b, v2
	v_fma_f32 v13, v2, s8, -v10
	v_rndne_f32_e32 v22, v10
	v_fmamk_f32 v13, v2, 0x32a5705f, v13
	v_sub_f32_e32 v10, v10, v22
	v_add_f32_e32 v10, v10, v13
	v_cvt_i32_f32_e32 v22, v22
	v_exp_f32_e32 v10, v10
	s_mov_b32 s8, 0xc2ce8ed0
	v_cmp_ngt_f32_e32 vcc, s8, v2
	v_mov_b32_e32 v13, 0x7f800000
	v_ldexp_f32 v10, v10, v22
	v_cndmask_b32_e32 v10, 0, v10, vcc
	v_cmp_nlt_f32_e32 vcc, s9, v2
	v_or_b32_e32 v22, 0x80, v12
	s_nop 0
	v_cndmask_b32_e32 v2, v13, v10, vcc
	v_mul_f32_e32 v10, v33, v2
	ds_bpermute_b32 v10, v9, v10
	s_waitcnt lgkmcnt(0)
	v_fmac_f32_e32 v10, v33, v2
	ds_bpermute_b32 v13, v5, v10
	v_cvt_f16_f32_e32 v2, v2
	s_waitcnt lgkmcnt(0)
	v_add_f32_e32 v10, v10, v13
	ds_bpermute_b32 v13, v6, v10
	v_mul_u32_u24_e32 v23, 0x10001, v2
	s_waitcnt lgkmcnt(0)
	v_add_f32_e32 v10, v10, v13
	ds_bpermute_b32 v13, v7, v10
	s_waitcnt vmcnt(1)
	v_pk_mul_f16 v14, v14, v23
	s_waitcnt lgkmcnt(0)
	v_add_f32_e32 v2, v10, v13
	ds_bpermute_b32 v10, v8, v2
	v_pk_mul_f16 v15, v15, v23
	v_pk_mul_f16 v16, v16, v23
	;; [unrolled: 1-line block ×3, first 2 shown]
	s_waitcnt vmcnt(0)
	v_pk_mul_f16 v18, v18, v23
	v_pk_mul_f16 v19, v19, v23
	;; [unrolled: 1-line block ×4, first 2 shown]
	scratch_store_dwordx4 off, v[14:17], off offset:32
	scratch_store_dwordx4 off, v[18:21], off offset:48
	ds_write_b128 v12, v[14:17]
	ds_write_b128 v22, v[18:21]
	s_and_saveexec_b64 s[8:9], s[4:5]
	s_cbranch_execz .LBB19_50
; %bb.49:
	s_waitcnt lgkmcnt(2)
	v_add_f32_e32 v2, v2, v10
	ds_write_b32 v11, v2 offset:128
.LBB19_50:
	s_or_b64 exec, exec, s[8:9]
	s_waitcnt lgkmcnt(0)
	s_barrier
	ds_read_b32 v11, v4 offset:128
	ds_read_u16 v2, v94
	ds_read_u16 v4, v94 offset:256
	ds_read_u16 v10, v94 offset:512
	;; [unrolled: 1-line block ×6, first 2 shown]
	s_waitcnt lgkmcnt(6)
	v_cvt_f32_f16_e32 v2, v2
	s_waitcnt lgkmcnt(5)
	v_cvt_f32_f16_e32 v4, v4
	ds_bpermute_b32 v13, v9, v11
	s_waitcnt lgkmcnt(5)
	v_cvt_f32_f16_e32 v9, v10
	s_waitcnt lgkmcnt(4)
	v_cvt_f32_f16_e32 v10, v12
	v_add_f32_e32 v2, 0, v2
	v_add_f32_e32 v2, v2, v4
	s_waitcnt lgkmcnt(3)
	v_cvt_f32_f16_e32 v4, v14
	v_add_f32_e32 v2, v2, v9
	s_waitcnt lgkmcnt(2)
	v_cvt_f32_f16_e32 v9, v15
	;; [unrolled: 3-line block ×3, first 2 shown]
	ds_read_u16 v12, v94 offset:1792
	ds_read_u16 v14, v94 offset:2048
	;; [unrolled: 1-line block ×8, first 2 shown]
	s_waitcnt lgkmcnt(7)
	v_cvt_f32_f16_e32 v12, v12
	v_add_f32_e32 v2, v2, v4
	s_waitcnt lgkmcnt(6)
	v_cvt_f32_f16_e32 v4, v14
	v_add_f32_e32 v2, v2, v9
	;; [unrolled: 3-line block ×5, first 2 shown]
	v_add_f32_e32 v2, v2, v9
	v_add_f32_e32 v10, v2, v10
	v_pk_add_f32 v[10:11], v[10:11], v[12:13]
	ds_bpermute_b32 v5, v5, v11
	s_waitcnt lgkmcnt(3)
	v_cvt_f32_f16_e32 v4, v18
	ds_read_u16 v2, v94 offset:3840
	s_add_i32 s10, s10, s19
	s_mul_i32 s2, s2, s10
	s_waitcnt lgkmcnt(1)
	v_pk_add_f32 v[4:5], v[10:11], v[4:5]
	ds_bpermute_b32 v11, v6, v5
	v_cvt_f32_f16_e32 v10, v19
	v_cvt_f32_f16_e32 v6, v20
	s_add_i32 s2, s2, s3
	s_waitcnt lgkmcnt(0)
	v_pk_add_f32 v[4:5], v[4:5], v[10:11]
	ds_bpermute_b32 v7, v7, v5
	s_waitcnt lgkmcnt(0)
	v_pk_add_f32 v[4:5], v[4:5], v[6:7]
	ds_bpermute_b32 v7, v8, v5
	v_cvt_f32_f16_e32 v6, v2
	s_waitcnt lgkmcnt(0)
	v_pk_add_f32 v[32:33], v[4:5], v[6:7]
	s_nop 0
	v_div_scale_f32 v2, s[4:5], v33, v33, v32
	v_rcp_f32_e32 v6, v2
	v_lshl_or_b32 v4, s2, 7, v93
	v_mov_b32_e32 v5, 0
	v_lshl_add_u64 v[4:5], v[4:5], 2, s[48:49]
	v_fma_f32 v7, -v2, v6, 1.0
	v_fmac_f32_e32 v6, v7, v6
	v_div_scale_f32 v7, vcc, v32, v33, v32
	v_mul_f32_e32 v8, v7, v6
	v_fma_f32 v9, -v2, v8, v7
	v_fmac_f32_e32 v8, v9, v6
	v_fma_f32 v2, -v2, v8, v7
	v_div_fmas_f32 v2, v2, v6, v8
	v_div_fixup_f32 v2, v2, v33, v32
	v_cndmask_b32_e64 v2, v32, v2, s[0:1]
	global_store_dword v[4:5], v2, off
	s_branch .LBB19_52
.LBB19_51:
	v_mov_b32_e32 v1, v91
.LBB19_52:
	v_mov_b32_e32 v32, v3
	v_mov_b64_e32 v[90:91], v[0:1]
.LBB19_53:
	s_load_dword s0, s[6:7], 0x4
	v_cmp_gt_u32_e32 vcc, 2, v93
	v_or_b32_e32 v0, s33, v92
	s_waitcnt lgkmcnt(0)
	s_cmp_lg_u32 s0, 1
	s_cselect_b64 s[4:5], -1, 0
	s_and_b64 s[4:5], s[4:5], vcc
	v_cmp_gt_i32_e32 vcc, s18, v0
	s_and_b64 s[4:5], s[4:5], vcc
	s_and_saveexec_b64 s[6:7], s[4:5]
	s_cbranch_execz .LBB19_55
; %bb.54:
	v_add_u32_e32 v0, s62, v0
	v_mul_lo_u32 v0, v0, s19
	v_add_u32_e32 v0, s20, v0
	v_mul_lo_u32 v0, s0, v0
	v_mov_b32_e32 v2, s50
	v_mov_b32_e32 v3, s51
	v_cmp_eq_u32_e32 vcc, 1, v93
	v_add_u32_e32 v0, s3, v0
	v_mov_b32_e32 v1, 0
	v_cndmask_b32_e32 v4, v90, v91, vcc
	v_cndmask_b32_e32 v5, v32, v33, vcc
	v_lshl_add_u64 v[0:1], v[0:1], 3, v[2:3]
	global_store_dwordx2 v[0:1], v[4:5], off
.LBB19_55:
	s_endpgm
	.section	.rodata,"a",@progbits
	.p2align	6, 0x0
	.amdhsa_kernel _ZL18flash_attn_ext_vecILi128ELi2EL9ggml_type3ELS0_30ELb0EEvPKcS2_S2_S2_S2_PKiPfP15HIP_vector_typeIfLj2EEffffjfiS6_IjLj3EEiiiiiiiiiiiliiliiiiil
		.amdhsa_group_segment_fixed_size 4608
		.amdhsa_private_segment_fixed_size 80
		.amdhsa_kernarg_size 464
		.amdhsa_user_sgpr_count 2
		.amdhsa_user_sgpr_dispatch_ptr 0
		.amdhsa_user_sgpr_queue_ptr 0
		.amdhsa_user_sgpr_kernarg_segment_ptr 1
		.amdhsa_user_sgpr_dispatch_id 0
		.amdhsa_user_sgpr_kernarg_preload_length 0
		.amdhsa_user_sgpr_kernarg_preload_offset 0
		.amdhsa_user_sgpr_private_segment_size 0
		.amdhsa_uses_dynamic_stack 0
		.amdhsa_enable_private_segment 1
		.amdhsa_system_sgpr_workgroup_id_x 1
		.amdhsa_system_sgpr_workgroup_id_y 1
		.amdhsa_system_sgpr_workgroup_id_z 1
		.amdhsa_system_sgpr_workgroup_info 0
		.amdhsa_system_vgpr_workitem_id 1
		.amdhsa_next_free_vgpr 132
		.amdhsa_next_free_sgpr 71
		.amdhsa_accum_offset 132
		.amdhsa_reserve_vcc 1
		.amdhsa_float_round_mode_32 0
		.amdhsa_float_round_mode_16_64 0
		.amdhsa_float_denorm_mode_32 3
		.amdhsa_float_denorm_mode_16_64 3
		.amdhsa_dx10_clamp 1
		.amdhsa_ieee_mode 1
		.amdhsa_fp16_overflow 0
		.amdhsa_tg_split 0
		.amdhsa_exception_fp_ieee_invalid_op 0
		.amdhsa_exception_fp_denorm_src 0
		.amdhsa_exception_fp_ieee_div_zero 0
		.amdhsa_exception_fp_ieee_overflow 0
		.amdhsa_exception_fp_ieee_underflow 0
		.amdhsa_exception_fp_ieee_inexact 0
		.amdhsa_exception_int_div_zero 0
	.end_amdhsa_kernel
	.section	.text._ZL18flash_attn_ext_vecILi128ELi2EL9ggml_type3ELS0_30ELb0EEvPKcS2_S2_S2_S2_PKiPfP15HIP_vector_typeIfLj2EEffffjfiS6_IjLj3EEiiiiiiiiiiiliiliiiiil,"axG",@progbits,_ZL18flash_attn_ext_vecILi128ELi2EL9ggml_type3ELS0_30ELb0EEvPKcS2_S2_S2_S2_PKiPfP15HIP_vector_typeIfLj2EEffffjfiS6_IjLj3EEiiiiiiiiiiiliiliiiiil,comdat
.Lfunc_end19:
	.size	_ZL18flash_attn_ext_vecILi128ELi2EL9ggml_type3ELS0_30ELb0EEvPKcS2_S2_S2_S2_PKiPfP15HIP_vector_typeIfLj2EEffffjfiS6_IjLj3EEiiiiiiiiiiiliiliiiiil, .Lfunc_end19-_ZL18flash_attn_ext_vecILi128ELi2EL9ggml_type3ELS0_30ELb0EEvPKcS2_S2_S2_S2_PKiPfP15HIP_vector_typeIfLj2EEffffjfiS6_IjLj3EEiiiiiiiiiiiliiliiiiil
                                        ; -- End function
	.set _ZL18flash_attn_ext_vecILi128ELi2EL9ggml_type3ELS0_30ELb0EEvPKcS2_S2_S2_S2_PKiPfP15HIP_vector_typeIfLj2EEffffjfiS6_IjLj3EEiiiiiiiiiiiliiliiiiil.num_vgpr, 132
	.set _ZL18flash_attn_ext_vecILi128ELi2EL9ggml_type3ELS0_30ELb0EEvPKcS2_S2_S2_S2_PKiPfP15HIP_vector_typeIfLj2EEffffjfiS6_IjLj3EEiiiiiiiiiiiliiliiiiil.num_agpr, 0
	.set _ZL18flash_attn_ext_vecILi128ELi2EL9ggml_type3ELS0_30ELb0EEvPKcS2_S2_S2_S2_PKiPfP15HIP_vector_typeIfLj2EEffffjfiS6_IjLj3EEiiiiiiiiiiiliiliiiiil.numbered_sgpr, 71
	.set _ZL18flash_attn_ext_vecILi128ELi2EL9ggml_type3ELS0_30ELb0EEvPKcS2_S2_S2_S2_PKiPfP15HIP_vector_typeIfLj2EEffffjfiS6_IjLj3EEiiiiiiiiiiiliiliiiiil.num_named_barrier, 0
	.set _ZL18flash_attn_ext_vecILi128ELi2EL9ggml_type3ELS0_30ELb0EEvPKcS2_S2_S2_S2_PKiPfP15HIP_vector_typeIfLj2EEffffjfiS6_IjLj3EEiiiiiiiiiiiliiliiiiil.private_seg_size, 80
	.set _ZL18flash_attn_ext_vecILi128ELi2EL9ggml_type3ELS0_30ELb0EEvPKcS2_S2_S2_S2_PKiPfP15HIP_vector_typeIfLj2EEffffjfiS6_IjLj3EEiiiiiiiiiiiliiliiiiil.uses_vcc, 1
	.set _ZL18flash_attn_ext_vecILi128ELi2EL9ggml_type3ELS0_30ELb0EEvPKcS2_S2_S2_S2_PKiPfP15HIP_vector_typeIfLj2EEffffjfiS6_IjLj3EEiiiiiiiiiiiliiliiiiil.uses_flat_scratch, 0
	.set _ZL18flash_attn_ext_vecILi128ELi2EL9ggml_type3ELS0_30ELb0EEvPKcS2_S2_S2_S2_PKiPfP15HIP_vector_typeIfLj2EEffffjfiS6_IjLj3EEiiiiiiiiiiiliiliiiiil.has_dyn_sized_stack, 0
	.set _ZL18flash_attn_ext_vecILi128ELi2EL9ggml_type3ELS0_30ELb0EEvPKcS2_S2_S2_S2_PKiPfP15HIP_vector_typeIfLj2EEffffjfiS6_IjLj3EEiiiiiiiiiiiliiliiiiil.has_recursion, 0
	.set _ZL18flash_attn_ext_vecILi128ELi2EL9ggml_type3ELS0_30ELb0EEvPKcS2_S2_S2_S2_PKiPfP15HIP_vector_typeIfLj2EEffffjfiS6_IjLj3EEiiiiiiiiiiiliiliiiiil.has_indirect_call, 0
	.section	.AMDGPU.csdata,"",@progbits
; Kernel info:
; codeLenInByte = 14372
; TotalNumSgprs: 77
; NumVgprs: 132
; NumAgprs: 0
; TotalNumVgprs: 132
; ScratchSize: 80
; MemoryBound: 0
; FloatMode: 240
; IeeeMode: 1
; LDSByteSize: 4608 bytes/workgroup (compile time only)
; SGPRBlocks: 9
; VGPRBlocks: 16
; NumSGPRsForWavesPerEU: 77
; NumVGPRsForWavesPerEU: 132
; AccumOffset: 132
; Occupancy: 3
; WaveLimiterHint : 0
; COMPUTE_PGM_RSRC2:SCRATCH_EN: 1
; COMPUTE_PGM_RSRC2:USER_SGPR: 2
; COMPUTE_PGM_RSRC2:TRAP_HANDLER: 0
; COMPUTE_PGM_RSRC2:TGID_X_EN: 1
; COMPUTE_PGM_RSRC2:TGID_Y_EN: 1
; COMPUTE_PGM_RSRC2:TGID_Z_EN: 1
; COMPUTE_PGM_RSRC2:TIDIG_COMP_CNT: 1
; COMPUTE_PGM_RSRC3_GFX90A:ACCUM_OFFSET: 32
; COMPUTE_PGM_RSRC3_GFX90A:TG_SPLIT: 0
	.section	.text._ZL33flash_attn_stream_k_fixup_uniformILi128ELi2ELi1EEvPfPK15HIP_vector_typeIfLj2EEiiiiiiS1_IjLj3EES5_S5_,"axG",@progbits,_ZL33flash_attn_stream_k_fixup_uniformILi128ELi2ELi1EEvPfPK15HIP_vector_typeIfLj2EEiiiiiiS1_IjLj3EES5_S5_,comdat
	.globl	_ZL33flash_attn_stream_k_fixup_uniformILi128ELi2ELi1EEvPfPK15HIP_vector_typeIfLj2EEiiiiiiS1_IjLj3EES5_S5_ ; -- Begin function _ZL33flash_attn_stream_k_fixup_uniformILi128ELi2ELi1EEvPfPK15HIP_vector_typeIfLj2EEiiiiiiS1_IjLj3EES5_S5_
	.p2align	8
	.type	_ZL33flash_attn_stream_k_fixup_uniformILi128ELi2ELi1EEvPfPK15HIP_vector_typeIfLj2EEiiiiiiS1_IjLj3EES5_S5_,@function
_ZL33flash_attn_stream_k_fixup_uniformILi128ELi2ELi1EEvPfPK15HIP_vector_typeIfLj2EEiiiiiiS1_IjLj3EES5_S5_: ; @_ZL33flash_attn_stream_k_fixup_uniformILi128ELi2ELi1EEvPfPK15HIP_vector_typeIfLj2EEiiiiiiS1_IjLj3EES5_S5_
; %bb.0:
	s_load_dwordx8 s[8:15], s[0:1], 0x1c
	s_load_dwordx2 s[6:7], s[0:1], 0x10
	s_load_dwordx4 s[20:23], s[0:1], 0x3c
	s_waitcnt lgkmcnt(0)
	s_mul_hi_u32 s5, s11, s2
	s_add_i32 s5, s2, s5
	s_lshr_b32 s5, s5, s12
	s_mul_i32 s11, s5, s13
	s_sub_i32 s11, s2, s11
	s_mul_hi_u32 s12, s11, s14
	s_add_i32 s12, s11, s12
	s_lshr_b32 s16, s12, s15
	s_mul_i32 s12, s16, s20
	s_sub_i32 s12, s11, s12
	;; [unrolled: 5-line block ×3, first 2 shown]
	s_lshl_b32 s12, s17, 1
	s_add_i32 s12, s12, s3
	s_cmp_lt_i32 s12, s6
	s_cselect_b64 s[12:13], -1, 0
	s_add_i32 s14, s11, s4
	s_cmp_lt_i32 s14, s9
	s_cselect_b64 s[14:15], -1, 0
	s_and_b64 s[12:13], s[12:13], s[14:15]
	s_andn2_b64 vcc, exec, s[12:13]
	s_cbranch_vccnz .LBB20_6
; %bb.1:
	s_load_dwordx4 s[12:15], s[0:1], 0x0
	s_mul_i32 s0, s5, s6
	s_add_i32 s0, s0, s3
	s_mul_i32 s0, s0, s7
	s_mul_i32 s16, s16, s9
	s_add_i32 s0, s0, s4
	s_add_i32 s0, s0, s16
	s_mul_i32 s1, s7, s17
	s_add_i32 s0, s0, s11
	s_lshl_b32 s1, s1, 8
	s_lshl_b32 s0, s0, 7
	s_add_i32 s1, s1, s0
	v_or_b32_e32 v4, s1, v0
	s_waitcnt lgkmcnt(0)
	v_mov_b32_e32 v2, s12
	v_mov_b32_e32 v3, s13
	v_ashrrev_i32_e32 v5, 31, v4
	v_lshl_add_u64 v[2:3], v[4:5], 2, v[2:3]
	global_load_dword v5, v[2:3], off
	s_mul_i32 s6, s10, s2
	s_add_i32 s7, s6, s10
	s_add_i32 s3, s3, s4
	s_lshl_b32 s0, s7, 1
	s_add_i32 s0, s3, s0
	s_add_i32 s0, s0, -2
	s_ashr_i32 s1, s0, 31
	s_lshl_b64 s[0:1], s[0:1], 3
	s_add_u32 s0, s14, s0
	s_addc_u32 s1, s15, s1
	s_load_dword s9, s[0:1], 0x4
	s_add_i32 s4, s7, -2
	s_cmp_lt_i32 s4, s6
	s_cbranch_scc1 .LBB20_4
; %bb.2:
	s_lshl_b32 s4, s8, 3
	s_ashr_i32 s5, s4, 31
	s_lshl_b64 s[4:5], s[4:5], 2
	s_add_u32 s4, s14, s4
	s_addc_u32 s5, s15, s5
	s_add_i32 s2, s2, 1
	s_mul_i32 s2, s10, s2
	s_load_dword s0, s[0:1], 0x0
	s_lshl_b32 s1, s3, 7
	s_lshl_b32 s10, s2, 8
	s_add_i32 s1, s1, s10
	v_or_b32_e32 v0, s1, v0
	s_lshl_b32 s1, s2, 1
	s_add_i32 s1, s3, s1
	s_lshl_b32 s2, s8, 1
	s_add_i32 s1, s1, s2
	s_add_i32 s7, s7, -1
	v_add_u32_e32 v0, 0xfffffe00, v0
	s_add_i32 s2, s1, -4
	s_waitcnt lgkmcnt(0)
	v_mov_b32_e32 v7, s0
	v_mov_b32_e32 v4, s9
	s_mov_b32 s8, 0x3fb8aa3b
	s_mov_b32 s9, 0xc2ce8ed0
	;; [unrolled: 1-line block ×3, first 2 shown]
	v_mov_b32_e32 v6, 0x7f800000
	s_mov_b32 s11, 0xc1a00000
.LBB20_3:                               ; =>This Inner Loop Header: Depth=1
	v_ashrrev_i32_e32 v1, 31, v0
	v_lshl_add_u64 v[8:9], v[0:1], 2, s[4:5]
	global_load_dword v9, v[8:9], off
	s_ashr_i32 s3, s2, 31
	s_lshl_b64 s[0:1], s[2:3], 3
	s_add_u32 s0, s14, s0
	s_addc_u32 s1, s15, s1
	s_load_dwordx2 s[0:1], s[0:1], 0x0
	v_max_f32_e32 v1, v7, v7
	s_add_i32 s7, s7, -1
	s_add_i32 s2, s2, -2
	v_add_u32_e32 v0, 0xffffff00, v0
	s_waitcnt lgkmcnt(0)
	v_max_f32_e64 v10, s0, s0
	v_max_f32_e32 v1, v1, v10
	v_sub_f32_e32 v11, s0, v1
	v_sub_f32_e32 v10, v7, v1
	v_mul_f32_e32 v12, 0x3fb8aa3b, v11
	v_mov_b32_e32 v7, v1
	v_mul_f32_e32 v1, 0x3fb8aa3b, v10
	v_fma_f32 v15, v11, s8, -v12
	v_rndne_f32_e32 v16, v12
	v_fma_f32 v13, v10, s8, -v1
	v_rndne_f32_e32 v14, v1
	v_fmac_f32_e32 v15, 0x32a5705f, v11
	v_sub_f32_e32 v12, v12, v16
	v_fmac_f32_e32 v13, 0x32a5705f, v10
	v_sub_f32_e32 v1, v1, v14
	v_add_f32_e32 v12, v12, v15
	v_cvt_i32_f32_e32 v16, v16
	v_add_f32_e32 v1, v1, v13
	v_exp_f32_e32 v12, v12
	v_cvt_i32_f32_e32 v14, v14
	v_exp_f32_e32 v1, v1
	v_cmp_ngt_f32_e32 vcc, s9, v11
	v_ldexp_f32 v12, v12, v16
	v_mov_b32_e32 v8, s1
	v_ldexp_f32 v1, v1, v14
	v_cmp_ngt_f32_e64 s[0:1], s9, v10
	v_cndmask_b32_e32 v12, 0, v12, vcc
	v_cmp_nlt_f32_e32 vcc, s10, v11
	v_cndmask_b32_e64 v1, 0, v1, s[0:1]
	v_cmp_nlt_f32_e64 s[0:1], s10, v10
	v_cndmask_b32_e32 v12, v6, v12, vcc
	v_cmp_le_f32_e32 vcc, s11, v11
	v_cndmask_b32_e64 v1, v6, v1, s[0:1]
	v_cmp_le_f32_e64 s[0:1], s11, v10
	v_cndmask_b32_e32 v12, 0, v12, vcc
	s_cmp_le_i32 s7, s6
	v_cndmask_b32_e64 v10, 0, v1, s[0:1]
	s_waitcnt vmcnt(0)
	v_pk_mul_f32 v[8:9], v[8:9], v[12:13] op_sel_hi:[1,0]
	s_nop 0
	v_pk_fma_f32 v[4:5], v[4:5], v[10:11], v[8:9] op_sel_hi:[1,0,1]
	s_cbranch_scc0 .LBB20_3
	s_branch .LBB20_5
.LBB20_4:
	s_waitcnt lgkmcnt(0)
	v_mov_b32_e32 v4, s9
.LBB20_5:
	s_waitcnt vmcnt(0)
	v_div_scale_f32 v0, s[0:1], v4, v4, v5
	v_rcp_f32_e32 v1, v0
	v_div_scale_f32 v6, vcc, v5, v4, v5
	v_fma_f32 v7, -v0, v1, 1.0
	v_fmac_f32_e32 v1, v7, v1
	v_mul_f32_e32 v7, v6, v1
	v_fma_f32 v8, -v0, v7, v6
	v_fmac_f32_e32 v7, v8, v1
	v_fma_f32 v0, -v0, v7, v6
	v_div_fmas_f32 v0, v0, v1, v7
	v_div_fixup_f32 v0, v0, v4, v5
	global_store_dword v[2:3], v0, off
.LBB20_6:
	s_endpgm
	.section	.rodata,"a",@progbits
	.p2align	6, 0x0
	.amdhsa_kernel _ZL33flash_attn_stream_k_fixup_uniformILi128ELi2ELi1EEvPfPK15HIP_vector_typeIfLj2EEiiiiiiS1_IjLj3EES5_S5_
		.amdhsa_group_segment_fixed_size 0
		.amdhsa_private_segment_fixed_size 0
		.amdhsa_kernarg_size 76
		.amdhsa_user_sgpr_count 2
		.amdhsa_user_sgpr_dispatch_ptr 0
		.amdhsa_user_sgpr_queue_ptr 0
		.amdhsa_user_sgpr_kernarg_segment_ptr 1
		.amdhsa_user_sgpr_dispatch_id 0
		.amdhsa_user_sgpr_kernarg_preload_length 0
		.amdhsa_user_sgpr_kernarg_preload_offset 0
		.amdhsa_user_sgpr_private_segment_size 0
		.amdhsa_uses_dynamic_stack 0
		.amdhsa_enable_private_segment 0
		.amdhsa_system_sgpr_workgroup_id_x 1
		.amdhsa_system_sgpr_workgroup_id_y 1
		.amdhsa_system_sgpr_workgroup_id_z 1
		.amdhsa_system_sgpr_workgroup_info 0
		.amdhsa_system_vgpr_workitem_id 0
		.amdhsa_next_free_vgpr 17
		.amdhsa_next_free_sgpr 24
		.amdhsa_accum_offset 20
		.amdhsa_reserve_vcc 1
		.amdhsa_float_round_mode_32 0
		.amdhsa_float_round_mode_16_64 0
		.amdhsa_float_denorm_mode_32 3
		.amdhsa_float_denorm_mode_16_64 3
		.amdhsa_dx10_clamp 1
		.amdhsa_ieee_mode 1
		.amdhsa_fp16_overflow 0
		.amdhsa_tg_split 0
		.amdhsa_exception_fp_ieee_invalid_op 0
		.amdhsa_exception_fp_denorm_src 0
		.amdhsa_exception_fp_ieee_div_zero 0
		.amdhsa_exception_fp_ieee_overflow 0
		.amdhsa_exception_fp_ieee_underflow 0
		.amdhsa_exception_fp_ieee_inexact 0
		.amdhsa_exception_int_div_zero 0
	.end_amdhsa_kernel
	.section	.text._ZL33flash_attn_stream_k_fixup_uniformILi128ELi2ELi1EEvPfPK15HIP_vector_typeIfLj2EEiiiiiiS1_IjLj3EES5_S5_,"axG",@progbits,_ZL33flash_attn_stream_k_fixup_uniformILi128ELi2ELi1EEvPfPK15HIP_vector_typeIfLj2EEiiiiiiS1_IjLj3EES5_S5_,comdat
.Lfunc_end20:
	.size	_ZL33flash_attn_stream_k_fixup_uniformILi128ELi2ELi1EEvPfPK15HIP_vector_typeIfLj2EEiiiiiiS1_IjLj3EES5_S5_, .Lfunc_end20-_ZL33flash_attn_stream_k_fixup_uniformILi128ELi2ELi1EEvPfPK15HIP_vector_typeIfLj2EEiiiiiiS1_IjLj3EES5_S5_
                                        ; -- End function
	.set _ZL33flash_attn_stream_k_fixup_uniformILi128ELi2ELi1EEvPfPK15HIP_vector_typeIfLj2EEiiiiiiS1_IjLj3EES5_S5_.num_vgpr, 17
	.set _ZL33flash_attn_stream_k_fixup_uniformILi128ELi2ELi1EEvPfPK15HIP_vector_typeIfLj2EEiiiiiiS1_IjLj3EES5_S5_.num_agpr, 0
	.set _ZL33flash_attn_stream_k_fixup_uniformILi128ELi2ELi1EEvPfPK15HIP_vector_typeIfLj2EEiiiiiiS1_IjLj3EES5_S5_.numbered_sgpr, 24
	.set _ZL33flash_attn_stream_k_fixup_uniformILi128ELi2ELi1EEvPfPK15HIP_vector_typeIfLj2EEiiiiiiS1_IjLj3EES5_S5_.num_named_barrier, 0
	.set _ZL33flash_attn_stream_k_fixup_uniformILi128ELi2ELi1EEvPfPK15HIP_vector_typeIfLj2EEiiiiiiS1_IjLj3EES5_S5_.private_seg_size, 0
	.set _ZL33flash_attn_stream_k_fixup_uniformILi128ELi2ELi1EEvPfPK15HIP_vector_typeIfLj2EEiiiiiiS1_IjLj3EES5_S5_.uses_vcc, 1
	.set _ZL33flash_attn_stream_k_fixup_uniformILi128ELi2ELi1EEvPfPK15HIP_vector_typeIfLj2EEiiiiiiS1_IjLj3EES5_S5_.uses_flat_scratch, 0
	.set _ZL33flash_attn_stream_k_fixup_uniformILi128ELi2ELi1EEvPfPK15HIP_vector_typeIfLj2EEiiiiiiS1_IjLj3EES5_S5_.has_dyn_sized_stack, 0
	.set _ZL33flash_attn_stream_k_fixup_uniformILi128ELi2ELi1EEvPfPK15HIP_vector_typeIfLj2EEiiiiiiS1_IjLj3EES5_S5_.has_recursion, 0
	.set _ZL33flash_attn_stream_k_fixup_uniformILi128ELi2ELi1EEvPfPK15HIP_vector_typeIfLj2EEiiiiiiS1_IjLj3EES5_S5_.has_indirect_call, 0
	.section	.AMDGPU.csdata,"",@progbits
; Kernel info:
; codeLenInByte = 816
; TotalNumSgprs: 30
; NumVgprs: 17
; NumAgprs: 0
; TotalNumVgprs: 17
; ScratchSize: 0
; MemoryBound: 0
; FloatMode: 240
; IeeeMode: 1
; LDSByteSize: 0 bytes/workgroup (compile time only)
; SGPRBlocks: 3
; VGPRBlocks: 2
; NumSGPRsForWavesPerEU: 30
; NumVGPRsForWavesPerEU: 17
; AccumOffset: 20
; Occupancy: 8
; WaveLimiterHint : 0
; COMPUTE_PGM_RSRC2:SCRATCH_EN: 0
; COMPUTE_PGM_RSRC2:USER_SGPR: 2
; COMPUTE_PGM_RSRC2:TRAP_HANDLER: 0
; COMPUTE_PGM_RSRC2:TGID_X_EN: 1
; COMPUTE_PGM_RSRC2:TGID_Y_EN: 1
; COMPUTE_PGM_RSRC2:TGID_Z_EN: 1
; COMPUTE_PGM_RSRC2:TIDIG_COMP_CNT: 0
; COMPUTE_PGM_RSRC3_GFX90A:ACCUM_OFFSET: 4
; COMPUTE_PGM_RSRC3_GFX90A:TG_SPLIT: 0
	.section	.text._ZL33flash_attn_stream_k_fixup_generalILi128ELi2ELi1EEvPfPK15HIP_vector_typeIfLj2EEiiiiS1_IjLj3EES5_S5_S5_,"axG",@progbits,_ZL33flash_attn_stream_k_fixup_generalILi128ELi2ELi1EEvPfPK15HIP_vector_typeIfLj2EEiiiiS1_IjLj3EES5_S5_S5_,comdat
	.globl	_ZL33flash_attn_stream_k_fixup_generalILi128ELi2ELi1EEvPfPK15HIP_vector_typeIfLj2EEiiiiS1_IjLj3EES5_S5_S5_ ; -- Begin function _ZL33flash_attn_stream_k_fixup_generalILi128ELi2ELi1EEvPfPK15HIP_vector_typeIfLj2EEiiiiS1_IjLj3EES5_S5_S5_
	.p2align	8
	.type	_ZL33flash_attn_stream_k_fixup_generalILi128ELi2ELi1EEvPfPK15HIP_vector_typeIfLj2EEiiiiS1_IjLj3EES5_S5_S5_,@function
_ZL33flash_attn_stream_k_fixup_generalILi128ELi2ELi1EEvPfPK15HIP_vector_typeIfLj2EEiiiiS1_IjLj3EES5_S5_S5_: ; @_ZL33flash_attn_stream_k_fixup_generalILi128ELi2ELi1EEvPfPK15HIP_vector_typeIfLj2EEiiiiS1_IjLj3EES5_S5_S5_
; %bb.0:
	s_load_dwordx4 s[8:11], s[0:1], 0x10
	s_load_dword s22, s[0:1], 0x50
	s_mov_b32 s12, 0
	s_waitcnt lgkmcnt(0)
	s_mul_hi_i32 s13, s11, s2
	s_cmp_lg_u64 s[12:13], 0
	s_mul_i32 s5, s11, s2
	s_cbranch_scc0 .LBB21_20
; %bb.1:
	s_add_u32 s6, s22, 0
	s_addc_u32 s7, 0, 0
	s_xor_b64 s[6:7], s[6:7], 0
	v_cvt_f32_u32_e32 v1, s6
	v_cvt_f32_u32_e32 v2, s7
	s_sub_u32 s12, 0, s6
	s_subb_u32 s18, 0, s7
	v_fmamk_f32 v1, v2, 0x4f800000, v1
	v_rcp_f32_e32 v1, v1
	s_nop 0
	v_mul_f32_e32 v1, 0x5f7ffffc, v1
	v_mul_f32_e32 v2, 0x2f800000, v1
	v_trunc_f32_e32 v2, v2
	v_fmamk_f32 v1, v2, 0xcf800000, v1
	v_cvt_u32_f32_e32 v2, v2
	v_cvt_u32_f32_e32 v1, v1
	v_readfirstlane_b32 s19, v2
	v_readfirstlane_b32 s14, v1
	s_mul_i32 s15, s12, s19
	s_mul_hi_u32 s21, s12, s14
	s_mul_i32 s20, s18, s14
	s_add_i32 s15, s21, s15
	s_add_i32 s15, s15, s20
	s_mul_i32 s23, s12, s14
	s_mul_i32 s21, s14, s15
	s_mul_hi_u32 s24, s14, s23
	s_mul_hi_u32 s20, s14, s15
	s_add_u32 s21, s24, s21
	s_addc_u32 s20, 0, s20
	s_mul_hi_u32 s25, s19, s23
	s_mul_i32 s23, s19, s23
	s_add_u32 s21, s21, s23
	s_mul_hi_u32 s24, s19, s15
	s_addc_u32 s20, s20, s25
	s_addc_u32 s21, s24, 0
	s_mul_i32 s15, s19, s15
	s_add_u32 s15, s20, s15
	s_addc_u32 s20, 0, s21
	s_add_u32 s21, s14, s15
	s_cselect_b64 s[14:15], -1, 0
	s_cmp_lg_u64 s[14:15], 0
	s_addc_u32 s19, s19, s20
	s_mul_i32 s14, s12, s19
	s_mul_hi_u32 s15, s12, s21
	s_add_i32 s14, s15, s14
	s_mul_i32 s18, s18, s21
	s_add_i32 s14, s14, s18
	s_mul_i32 s12, s12, s21
	s_mul_hi_u32 s18, s19, s12
	s_mul_i32 s20, s19, s12
	s_mul_i32 s24, s21, s14
	s_mul_hi_u32 s12, s21, s12
	s_mul_hi_u32 s23, s21, s14
	s_add_u32 s12, s12, s24
	s_addc_u32 s23, 0, s23
	s_add_u32 s12, s12, s20
	s_mul_hi_u32 s15, s19, s14
	s_addc_u32 s12, s23, s18
	s_addc_u32 s15, s15, 0
	s_mul_i32 s14, s19, s14
	s_add_u32 s12, s12, s14
	s_addc_u32 s18, 0, s15
	s_add_u32 s20, s21, s12
	s_cselect_b64 s[14:15], -1, 0
	s_cmp_lg_u64 s[14:15], 0
	s_addc_u32 s18, s19, s18
	s_ashr_i32 s14, s13, 31
	s_add_u32 s12, s5, s14
	s_mov_b32 s15, s14
	s_addc_u32 s13, s13, s14
	s_xor_b64 s[12:13], s[12:13], s[14:15]
	s_mul_i32 s21, s12, s18
	s_mul_hi_u32 s23, s12, s20
	s_mul_hi_u32 s19, s12, s18
	s_add_u32 s21, s23, s21
	s_addc_u32 s19, 0, s19
	s_mul_hi_u32 s24, s13, s20
	s_mul_i32 s20, s13, s20
	s_add_u32 s20, s21, s20
	s_mul_hi_u32 s23, s13, s18
	s_addc_u32 s19, s19, s24
	s_addc_u32 s20, s23, 0
	s_mul_i32 s18, s13, s18
	s_add_u32 s23, s19, s18
	s_addc_u32 s24, 0, s20
	s_mul_i32 s18, s6, s24
	s_mul_hi_u32 s19, s6, s23
	s_add_i32 s18, s19, s18
	s_mul_i32 s19, s7, s23
	s_add_i32 s25, s18, s19
	s_sub_i32 s20, s13, s25
	s_mul_i32 s18, s6, s23
	s_sub_u32 s12, s12, s18
	s_cselect_b64 s[18:19], -1, 0
	s_cmp_lg_u64 s[18:19], 0
	s_subb_u32 s26, s20, s7
	s_sub_u32 s27, s12, s6
	s_cselect_b64 s[20:21], -1, 0
	s_cmp_lg_u64 s[20:21], 0
	s_subb_u32 s20, s26, 0
	s_cmp_ge_u32 s20, s7
	s_cselect_b32 s21, -1, 0
	s_cmp_ge_u32 s27, s6
	s_cselect_b32 s26, -1, 0
	s_cmp_eq_u32 s20, s7
	s_cselect_b32 s20, s26, s21
	s_add_u32 s21, s23, 1
	s_addc_u32 s26, s24, 0
	s_add_u32 s27, s23, 2
	s_addc_u32 s28, s24, 0
	s_cmp_lg_u32 s20, 0
	s_cselect_b32 s20, s27, s21
	s_cselect_b32 s21, s28, s26
	s_cmp_lg_u64 s[18:19], 0
	s_subb_u32 s13, s13, s25
	s_cmp_ge_u32 s13, s7
	s_cselect_b32 s18, -1, 0
	s_cmp_ge_u32 s12, s6
	s_cselect_b32 s6, -1, 0
	s_cmp_eq_u32 s13, s7
	s_cselect_b32 s6, s6, s18
	s_cmp_lg_u32 s6, 0
	s_cselect_b32 s7, s21, s24
	s_cselect_b32 s6, s20, s23
	s_xor_b64 s[12:13], s[14:15], 0
	s_xor_b64 s[6:7], s[6:7], s[12:13]
	s_sub_u32 s6, s6, s12
	s_load_dwordx4 s[12:15], s[0:1], 0x44
	s_cbranch_execnz .LBB21_3
.LBB21_2:
	v_cvt_f32_u32_e32 v1, s22
	s_sub_i32 s6, 0, s22
	v_rcp_iflag_f32_e32 v1, v1
	s_nop 0
	v_mul_f32_e32 v1, 0x4f7ffffe, v1
	v_cvt_u32_f32_e32 v1, v1
	s_nop 0
	v_readfirstlane_b32 s7, v1
	s_mul_i32 s6, s6, s7
	s_mul_hi_u32 s6, s7, s6
	s_add_i32 s7, s7, s6
	s_mul_hi_u32 s6, s5, s7
	s_waitcnt lgkmcnt(0)
	s_mul_i32 s15, s6, s22
	s_sub_i32 s5, s5, s15
	s_add_i32 s7, s6, 1
	s_sub_i32 s15, s5, s22
	s_cmp_ge_u32 s5, s22
	s_cselect_b32 s6, s7, s6
	s_cselect_b32 s5, s15, s5
	s_add_i32 s7, s6, 1
	s_cmp_ge_u32 s5, s22
	s_cselect_b32 s6, s7, s6
.LBB21_3:
	s_add_i32 s5, s2, 1
	s_mul_hi_i32 s21, s11, s5
	s_mov_b32 s20, 0
	s_cmp_lg_u64 s[20:21], 0
	s_mul_i32 s5, s11, s5
	s_cbranch_scc0 .LBB21_21
; %bb.4:
	s_add_u32 s16, s22, 0
	s_addc_u32 s17, 0, 0
	s_xor_b64 s[18:19], s[16:17], 0
	v_cvt_f32_u32_e32 v1, s18
	v_cvt_f32_u32_e32 v2, s19
	s_sub_u32 s7, 0, s18
	s_waitcnt lgkmcnt(0)
	s_subb_u32 s15, 0, s19
	v_fmamk_f32 v1, v2, 0x4f800000, v1
	v_rcp_f32_e32 v1, v1
	s_nop 0
	v_mul_f32_e32 v1, 0x5f7ffffc, v1
	v_mul_f32_e32 v2, 0x2f800000, v1
	v_trunc_f32_e32 v2, v2
	v_fmamk_f32 v1, v2, 0xcf800000, v1
	v_cvt_u32_f32_e32 v2, v2
	v_cvt_u32_f32_e32 v1, v1
	v_readfirstlane_b32 s20, v2
	v_readfirstlane_b32 s23, v1
	s_mul_i32 s24, s7, s20
	s_mul_hi_u32 s26, s7, s23
	s_mul_i32 s25, s15, s23
	s_add_i32 s24, s26, s24
	s_add_i32 s24, s24, s25
	s_mul_i32 s27, s7, s23
	s_mul_i32 s26, s23, s24
	s_mul_hi_u32 s28, s23, s27
	s_mul_hi_u32 s25, s23, s24
	s_add_u32 s26, s28, s26
	s_addc_u32 s25, 0, s25
	s_mul_hi_u32 s29, s20, s27
	s_mul_i32 s27, s20, s27
	s_add_u32 s26, s26, s27
	s_mul_hi_u32 s28, s20, s24
	s_addc_u32 s25, s25, s29
	s_addc_u32 s26, s28, 0
	s_mul_i32 s24, s20, s24
	s_add_u32 s24, s25, s24
	s_addc_u32 s26, 0, s26
	s_add_u32 s23, s23, s24
	s_cselect_b64 s[24:25], -1, 0
	s_cmp_lg_u64 s[24:25], 0
	s_addc_u32 s20, s20, s26
	s_mul_i32 s24, s7, s20
	s_mul_hi_u32 s25, s7, s23
	s_add_i32 s24, s25, s24
	s_mul_i32 s15, s15, s23
	s_add_i32 s24, s24, s15
	s_mul_i32 s7, s7, s23
	s_mul_hi_u32 s25, s20, s7
	s_mul_i32 s26, s20, s7
	s_mul_i32 s28, s23, s24
	s_mul_hi_u32 s7, s23, s7
	s_mul_hi_u32 s27, s23, s24
	s_add_u32 s7, s7, s28
	s_addc_u32 s27, 0, s27
	s_add_u32 s7, s7, s26
	s_mul_hi_u32 s15, s20, s24
	s_addc_u32 s7, s27, s25
	s_addc_u32 s15, s15, 0
	s_mul_i32 s24, s20, s24
	s_add_u32 s7, s7, s24
	s_addc_u32 s15, 0, s15
	s_add_u32 s7, s23, s7
	s_cselect_b64 s[24:25], -1, 0
	s_cmp_lg_u64 s[24:25], 0
	s_addc_u32 s15, s20, s15
	s_ashr_i32 s24, s21, 31
	s_add_u32 s20, s5, s24
	s_mov_b32 s25, s24
	s_addc_u32 s21, s21, s24
	s_xor_b64 s[20:21], s[20:21], s[24:25]
	s_mul_i32 s26, s20, s15
	s_mul_hi_u32 s27, s20, s7
	s_mul_hi_u32 s23, s20, s15
	s_add_u32 s26, s27, s26
	s_addc_u32 s23, 0, s23
	s_mul_hi_u32 s28, s21, s7
	s_mul_i32 s7, s21, s7
	s_add_u32 s7, s26, s7
	s_mul_hi_u32 s27, s21, s15
	s_addc_u32 s7, s23, s28
	s_addc_u32 s23, s27, 0
	s_mul_i32 s15, s21, s15
	s_add_u32 s7, s7, s15
	s_addc_u32 s15, 0, s23
	s_mul_i32 s23, s18, s15
	s_mul_hi_u32 s26, s18, s7
	s_add_i32 s23, s26, s23
	s_mul_i32 s26, s19, s7
	s_add_i32 s23, s23, s26
	s_sub_i32 s28, s21, s23
	s_mul_i32 s26, s18, s7
	s_sub_u32 s20, s20, s26
	s_cselect_b64 s[26:27], -1, 0
	s_cmp_lg_u64 s[26:27], 0
	s_subb_u32 s30, s28, s19
	s_sub_u32 s31, s20, s18
	s_cselect_b64 s[28:29], -1, 0
	s_cmp_lg_u64 s[28:29], 0
	s_subb_u32 s28, s30, 0
	s_cmp_ge_u32 s28, s19
	s_cselect_b32 s29, -1, 0
	s_cmp_ge_u32 s31, s18
	s_cselect_b32 s30, -1, 0
	s_cmp_eq_u32 s28, s19
	s_cselect_b32 s28, s30, s29
	s_add_u32 s29, s7, 1
	s_addc_u32 s30, s15, 0
	s_add_u32 s31, s7, 2
	s_addc_u32 s33, s15, 0
	s_cmp_lg_u32 s28, 0
	s_cselect_b32 s28, s31, s29
	s_cselect_b32 s29, s33, s30
	s_cmp_lg_u64 s[26:27], 0
	s_subb_u32 s21, s21, s23
	s_cmp_ge_u32 s21, s19
	s_cselect_b32 s23, -1, 0
	s_cmp_ge_u32 s20, s18
	s_cselect_b32 s18, -1, 0
	s_cmp_eq_u32 s21, s19
	s_cselect_b32 s18, s18, s23
	s_cmp_lg_u32 s18, 0
	s_cselect_b32 s19, s29, s15
	s_cselect_b32 s18, s28, s7
	s_xor_b64 s[20:21], s[24:25], 0
	s_xor_b64 s[18:19], s[18:19], s[20:21]
	s_sub_u32 s18, s18, s20
	s_cbranch_execnz .LBB21_6
.LBB21_5:
	v_cvt_f32_u32_e32 v1, s22
	s_sub_i32 s7, 0, s22
	v_rcp_iflag_f32_e32 v1, v1
	s_nop 0
	v_mul_f32_e32 v1, 0x4f7ffffe, v1
	v_cvt_u32_f32_e32 v1, v1
	s_waitcnt lgkmcnt(0)
	v_readfirstlane_b32 s15, v1
	s_mul_i32 s7, s7, s15
	s_mul_hi_u32 s7, s15, s7
	s_add_i32 s15, s15, s7
	s_mul_hi_u32 s7, s5, s15
	s_mul_i32 s16, s7, s22
	s_sub_i32 s5, s5, s16
	s_add_i32 s15, s7, 1
	s_sub_i32 s16, s5, s22
	s_cmp_ge_u32 s5, s22
	s_cselect_b32 s7, s15, s7
	s_cselect_b32 s5, s16, s5
	s_add_i32 s15, s7, 1
	s_cmp_ge_u32 s5, s22
	s_cselect_b32 s18, s15, s7
.LBB21_6:
	s_cmp_eq_u32 s6, s18
	s_waitcnt lgkmcnt(0)
	s_mul_hi_u32 s5, s6, s12
	s_cselect_b64 s[16:17], -1, 0
	s_add_i32 s5, s5, s6
	s_lshr_b32 s7, s5, s13
	s_mul_i32 s5, s7, s14
	s_cmp_eq_u32 s5, s6
	s_mul_hi_u32 s5, s18, s12
	s_cselect_b64 s[20:21], -1, 0
	s_add_i32 s5, s5, s18
	s_lshr_b32 s5, s5, s13
	s_cmp_eq_u32 s7, s5
	s_mul_i32 s5, s5, s14
	s_cselect_b64 s[24:25], -1, 0
	s_cmp_lg_u32 s5, s18
	s_cselect_b64 s[18:19], -1, 0
	s_and_b64 s[18:19], s[24:25], s[18:19]
	s_or_b64 s[16:17], s[16:17], s[20:21]
	s_or_b64 s[16:17], s[16:17], s[18:19]
	s_and_b64 vcc, exec, s[16:17]
	s_cbranch_vccnz .LBB21_23
; %bb.7:
	s_load_dwordx8 s[24:31], s[0:1], 0x20
	s_load_dword s15, s[0:1], 0x40
	s_waitcnt lgkmcnt(0)
	s_mul_hi_u32 s5, s6, s24
	s_add_i32 s5, s5, s6
	s_lshr_b32 s5, s5, s25
	s_mul_i32 s16, s5, s26
	s_sub_i32 s16, s6, s16
	s_mul_hi_u32 s17, s16, s27
	s_add_i32 s17, s16, s17
	s_lshr_b32 s21, s17, s28
	s_mul_i32 s17, s21, s29
	s_sub_i32 s16, s16, s17
	;; [unrolled: 5-line block ×3, first 2 shown]
	s_mul_hi_u32 s16, s15, s12
	s_add_i32 s15, s15, s16
	s_lshr_b32 s23, s15, s13
	s_lshl_b32 s15, s23, 1
	s_add_i32 s15, s15, s3
	s_cmp_lt_i32 s15, s8
	s_cselect_b64 s[16:17], -1, 0
	s_add_i32 s15, s20, s4
	s_cmp_lt_i32 s15, s10
	s_cselect_b64 s[18:19], -1, 0
	s_and_b64 s[16:17], s[16:17], s[18:19]
	s_andn2_b64 vcc, exec, s[16:17]
	s_cbranch_vccnz .LBB21_23
; %bb.8:
	s_load_dwordx4 s[16:19], s[0:1], 0x0
	s_mov_b32 s0, 0
	s_lshl_b32 s24, s22, 3
	s_mov_b32 s25, s0
	s_add_i32 s15, s3, s4
	s_waitcnt lgkmcnt(0)
	v_mov_b32_e32 v2, s16
	v_mov_b32_e32 v3, s17
	s_lshl_b64 s[16:17], s[24:25], 2
	s_add_u32 s16, s18, s16
	s_mul_i32 s1, s5, s8
	s_addc_u32 s17, s19, s17
	s_add_i32 s1, s1, s3
	s_mul_i32 s1, s1, s9
	s_mul_i32 s21, s21, s10
	s_add_i32 s1, s1, s4
	s_add_i32 s1, s1, s21
	s_mul_i32 s5, s9, s23
	s_add_i32 s1, s1, s20
	s_lshl_b32 s5, s5, 8
	s_lshl_b32 s1, s1, 7
	s_add_i32 s5, s5, s1
	v_or_b32_e32 v4, s5, v0
	v_ashrrev_i32_e32 v5, 31, v4
	v_lshl_add_u64 v[2:3], v[4:5], 2, v[2:3]
	global_load_dword v1, v[2:3], off
	v_cvt_f32_u32_e32 v4, s22
	s_lshl_b32 s1, s2, 1
	s_add_i32 s4, s1, s15
	s_ashr_i32 s5, s4, 31
	s_lshl_b64 s[4:5], s[4:5], 3
	v_rcp_iflag_f32_e32 v4, v4
	s_add_u32 s4, s18, s4
	s_addc_u32 s5, s19, s5
	s_load_dwordx2 s[4:5], s[4:5], 0x0
	v_mul_f32_e32 v4, 0x4f7ffffe, v4
	v_cvt_u32_f32_e32 v7, v4
	s_add_i32 s24, s2, -1
	v_lshl_or_b32 v6, s15, 7, v0
	s_waitcnt lgkmcnt(0)
	v_mov_b32_e32 v0, s5
	v_mov_b32_e32 v9, s4
	s_mov_b32 s10, 0x3fb8aa3b
	s_mov_b32 s20, 0xc2ce8ed0
	;; [unrolled: 1-line block ×4, first 2 shown]
	v_mov_b32_e32 v8, 0x7f800000
	s_mul_hi_i32 s1, s24, s11
	s_cmp_lg_u64 s[0:1], 0
	s_mul_i32 s8, s24, s11
	s_cbranch_scc0 .LBB21_19
.LBB21_9:
	s_add_u32 s2, s22, 0
	s_addc_u32 s3, 0, 0
	s_xor_b64 s[2:3], s[2:3], 0
	v_cvt_f32_u32_e32 v4, s2
	v_cvt_f32_u32_e32 v5, s3
	s_sub_u32 s9, 0, s2
	s_subb_u32 s25, 0, s3
	v_fmac_f32_e32 v4, 0x4f800000, v5
	v_rcp_f32_e32 v4, v4
	s_nop 0
	v_mul_f32_e32 v4, 0x5f7ffffc, v4
	v_mul_f32_e32 v5, 0x2f800000, v4
	v_trunc_f32_e32 v5, v5
	v_fmac_f32_e32 v4, 0xcf800000, v5
	v_cvt_u32_f32_e32 v5, v5
	v_cvt_u32_f32_e32 v4, v4
	v_readfirstlane_b32 s26, v5
	v_readfirstlane_b32 s4, v4
	s_mul_i32 s5, s9, s26
	s_mul_hi_u32 s28, s9, s4
	s_mul_i32 s27, s25, s4
	s_add_i32 s5, s28, s5
	s_mul_i32 s29, s9, s4
	s_add_i32 s5, s5, s27
	s_mul_i32 s28, s4, s5
	s_mul_hi_u32 s30, s4, s29
	s_mul_hi_u32 s27, s4, s5
	s_add_u32 s28, s30, s28
	s_addc_u32 s27, 0, s27
	s_mul_hi_u32 s31, s26, s29
	s_mul_i32 s29, s26, s29
	s_add_u32 s28, s28, s29
	s_mul_hi_u32 s30, s26, s5
	s_addc_u32 s27, s27, s31
	s_addc_u32 s28, s30, 0
	s_mul_i32 s5, s26, s5
	s_add_u32 s5, s27, s5
	s_addc_u32 s27, 0, s28
	s_add_u32 s28, s4, s5
	s_cselect_b64 s[4:5], -1, 0
	s_cmp_lg_u64 s[4:5], 0
	s_addc_u32 s26, s26, s27
	s_mul_i32 s4, s9, s26
	s_mul_hi_u32 s5, s9, s28
	s_add_i32 s4, s5, s4
	s_mul_i32 s25, s25, s28
	s_add_i32 s4, s4, s25
	s_mul_i32 s9, s9, s28
	s_mul_hi_u32 s25, s26, s9
	s_mul_i32 s27, s26, s9
	s_mul_i32 s30, s28, s4
	s_mul_hi_u32 s9, s28, s9
	s_mul_hi_u32 s29, s28, s4
	s_add_u32 s9, s9, s30
	s_addc_u32 s29, 0, s29
	s_add_u32 s9, s9, s27
	s_mul_hi_u32 s5, s26, s4
	s_addc_u32 s9, s29, s25
	s_addc_u32 s5, s5, 0
	s_mul_i32 s4, s26, s4
	s_add_u32 s4, s9, s4
	s_addc_u32 s9, 0, s5
	s_add_u32 s25, s28, s4
	s_cselect_b64 s[4:5], -1, 0
	s_cmp_lg_u64 s[4:5], 0
	s_addc_u32 s9, s26, s9
	s_ashr_i32 s4, s1, 31
	s_add_u32 s26, s8, s4
	s_mov_b32 s5, s4
	s_addc_u32 s27, s1, s4
	s_xor_b64 s[26:27], s[26:27], s[4:5]
	s_mul_i32 s28, s26, s9
	s_mul_hi_u32 s29, s26, s25
	s_mul_hi_u32 s1, s26, s9
	s_add_u32 s28, s29, s28
	s_addc_u32 s1, 0, s1
	s_mul_hi_u32 s30, s27, s25
	s_mul_i32 s25, s27, s25
	s_add_u32 s25, s28, s25
	s_mul_hi_u32 s29, s27, s9
	s_addc_u32 s1, s1, s30
	s_addc_u32 s25, s29, 0
	s_mul_i32 s9, s27, s9
	s_add_u32 s1, s1, s9
	s_addc_u32 s9, 0, s25
	s_mul_i32 s25, s2, s9
	s_mul_hi_u32 s28, s2, s1
	s_add_i32 s25, s28, s25
	s_mul_i32 s28, s3, s1
	s_add_i32 s25, s25, s28
	s_sub_i32 s30, s27, s25
	s_mul_i32 s28, s2, s1
	s_sub_u32 s26, s26, s28
	s_cselect_b64 s[28:29], -1, 0
	s_cmp_lg_u64 s[28:29], 0
	s_subb_u32 s33, s30, s3
	s_sub_u32 s34, s26, s2
	s_cselect_b64 s[30:31], -1, 0
	s_cmp_lg_u64 s[30:31], 0
	s_subb_u32 s30, s33, 0
	s_cmp_ge_u32 s30, s3
	s_cselect_b32 s31, -1, 0
	s_cmp_ge_u32 s34, s2
	s_cselect_b32 s33, -1, 0
	s_cmp_eq_u32 s30, s3
	s_cselect_b32 s30, s33, s31
	s_add_u32 s31, s1, 1
	s_addc_u32 s33, s9, 0
	s_add_u32 s34, s1, 2
	s_addc_u32 s35, s9, 0
	s_cmp_lg_u32 s30, 0
	s_cselect_b32 s30, s34, s31
	s_cselect_b32 s31, s35, s33
	s_cmp_lg_u64 s[28:29], 0
	s_subb_u32 s25, s27, s25
	s_cmp_ge_u32 s25, s3
	s_cselect_b32 s27, -1, 0
	s_cmp_ge_u32 s26, s2
	s_cselect_b32 s2, -1, 0
	s_cmp_eq_u32 s25, s3
	s_cselect_b32 s2, s2, s27
	s_cmp_lg_u32 s2, 0
	s_cselect_b32 s3, s31, s9
	s_cselect_b32 s2, s30, s1
	s_xor_b64 s[4:5], s[4:5], 0
	s_xor_b64 s[2:3], s[2:3], s[4:5]
	s_sub_u32 s4, s2, s4
	s_cbranch_execnz .LBB21_11
.LBB21_10:
	s_sub_i32 s1, 0, s22
	v_readfirstlane_b32 s2, v7
	s_mul_i32 s1, s1, s2
	s_mul_hi_u32 s1, s2, s1
	s_add_i32 s2, s2, s1
	s_mul_hi_u32 s1, s8, s2
	s_mul_i32 s3, s1, s22
	s_sub_i32 s3, s8, s3
	s_add_i32 s2, s1, 1
	s_sub_i32 s4, s3, s22
	s_cmp_ge_u32 s3, s22
	s_cselect_b32 s1, s2, s1
	s_cselect_b32 s3, s4, s3
	s_add_i32 s2, s1, 1
	s_cmp_ge_u32 s3, s22
	s_cselect_b32 s4, s2, s1
.LBB21_11:
	s_cmp_lg_u32 s6, s4
	s_cbranch_scc0 .LBB21_15
; %bb.12:
	s_add_i32 s1, s24, s22
	s_lshl_b32 s1, s1, 1
	s_add_i32 s2, s1, s15
	s_mov_b32 s3, s0
	s_lshl_b64 s[2:3], s[2:3], 3
	s_add_u32 s8, s18, s2
	s_mul_hi_u32 s1, s4, s12
	s_addc_u32 s9, s19, s3
	s_add_i32 s1, s1, s4
	s_lshr_b32 s1, s1, s13
	s_mul_i32 s2, s1, s14
	s_cmp_eq_u32 s2, s4
	s_cselect_b64 s[2:3], -1, 0
	s_cmp_lt_u32 s1, s7
	s_cselect_b64 s[26:27], -1, 0
	s_or_b64 s[26:27], s[26:27], s[2:3]
	s_mov_b64 s[2:3], -1
	s_and_b64 vcc, exec, s[26:27]
	s_mov_b32 s1, s24
	s_mov_b32 s25, s6
	s_cbranch_vccnz .LBB21_14
; %bb.13:
	s_add_i32 s1, s24, -1
	s_mov_b64 s[2:3], 0
	s_mov_b32 s25, s4
.LBB21_14:
	v_lshl_add_u32 v4, s24, 8, v6
	v_ashrrev_i32_e32 v5, 31, v4
	v_lshl_add_u64 v[4:5], v[4:5], 2, s[16:17]
	global_load_dword v5, v[4:5], off
	s_load_dwordx2 s[4:5], s[8:9], 0x0
	v_max_f32_e32 v4, v9, v9
	s_waitcnt lgkmcnt(0)
	v_max_f32_e64 v10, s4, s4
	v_max_f32_e32 v10, v4, v10
	v_sub_f32_e32 v11, v9, v10
	v_sub_f32_e32 v13, s4, v10
	v_mul_f32_e32 v4, 0x3fb8aa3b, v11
	v_mul_f32_e32 v12, 0x3fb8aa3b, v13
	v_fma_f32 v14, v11, s10, -v4
	v_rndne_f32_e32 v15, v4
	v_fma_f32 v16, v13, s10, -v12
	v_rndne_f32_e32 v17, v12
	v_fmac_f32_e32 v14, 0x32a5705f, v11
	v_sub_f32_e32 v4, v4, v15
	v_fmac_f32_e32 v16, 0x32a5705f, v13
	v_sub_f32_e32 v12, v12, v17
	v_add_f32_e32 v4, v4, v14
	v_cvt_i32_f32_e32 v15, v15
	v_add_f32_e32 v12, v12, v16
	v_exp_f32_e32 v14, v4
	v_cvt_i32_f32_e32 v17, v17
	v_exp_f32_e32 v12, v12
	v_cmp_ngt_f32_e32 vcc, s20, v11
	v_ldexp_f32 v14, v14, v15
	v_mov_b32_e32 v4, s5
	v_ldexp_f32 v12, v12, v17
	v_cndmask_b32_e32 v14, 0, v14, vcc
	v_cmp_ngt_f32_e32 vcc, s20, v13
	s_nop 1
	v_cndmask_b32_e32 v12, 0, v12, vcc
	v_cmp_nlt_f32_e32 vcc, s21, v11
	s_nop 1
	v_cndmask_b32_e32 v14, v8, v14, vcc
	v_cmp_nlt_f32_e32 vcc, s21, v13
	s_nop 1
	v_cndmask_b32_e32 v15, v8, v12, vcc
	v_cmp_le_f32_e32 vcc, s23, v11
	s_nop 1
	v_cndmask_b32_e32 v12, 0, v14, vcc
	v_cmp_le_f32_e32 vcc, s23, v13
	s_nop 1
	v_cndmask_b32_e32 v14, 0, v15, vcc
	s_waitcnt vmcnt(0)
	v_pk_mul_f32 v[4:5], v[4:5], v[14:15] op_sel_hi:[1,0]
	s_nop 0
	v_pk_fma_f32 v[4:5], v[0:1], v[12:13], v[4:5] op_sel_hi:[1,0,1]
	s_cbranch_execz .LBB21_16
	s_branch .LBB21_17
.LBB21_15:
                                        ; implicit-def: $vgpr4_vgpr5
                                        ; implicit-def: $sgpr2_sgpr3
                                        ; implicit-def: $vgpr10
                                        ; implicit-def: $sgpr1
                                        ; implicit-def: $sgpr25
.LBB21_16:
	s_add_i32 s1, s24, -1
	s_mov_b64 s[2:3], 0
	s_mov_b32 s25, s6
	v_mov_b32_e32 v10, v9
	s_waitcnt vmcnt(0)
	v_mov_b64_e32 v[4:5], v[0:1]
.LBB21_17:
	s_andn2_b64 vcc, exec, s[2:3]
	s_cbranch_vccz .LBB21_22
; %bb.18:
	s_mov_b32 s6, s25
	s_mov_b32 s24, s1
	v_mov_b32_e32 v9, v10
	s_waitcnt vmcnt(0)
	v_mov_b64_e32 v[0:1], v[4:5]
	s_mul_hi_i32 s1, s24, s11
	s_cmp_lg_u64 s[0:1], 0
	s_mul_i32 s8, s24, s11
	s_cbranch_scc1 .LBB21_9
.LBB21_19:
                                        ; implicit-def: $sgpr4_sgpr5
	s_branch .LBB21_10
.LBB21_20:
                                        ; implicit-def: $sgpr6_sgpr7
	s_load_dwordx4 s[12:15], s[0:1], 0x44
	s_branch .LBB21_2
.LBB21_21:
                                        ; implicit-def: $sgpr18_sgpr19
	s_branch .LBB21_5
.LBB21_22:
	v_div_scale_f32 v0, s[0:1], v4, v4, v5
	s_waitcnt vmcnt(0)
	v_rcp_f32_e32 v1, v0
	v_div_scale_f32 v6, vcc, v5, v4, v5
	v_fma_f32 v7, -v0, v1, 1.0
	v_fmac_f32_e32 v1, v7, v1
	v_mul_f32_e32 v7, v6, v1
	v_fma_f32 v8, -v0, v7, v6
	v_fmac_f32_e32 v7, v8, v1
	v_fma_f32 v0, -v0, v7, v6
	v_div_fmas_f32 v0, v0, v1, v7
	v_div_fixup_f32 v0, v0, v4, v5
	global_store_dword v[2:3], v0, off
.LBB21_23:
	s_endpgm
	.section	.rodata,"a",@progbits
	.p2align	6, 0x0
	.amdhsa_kernel _ZL33flash_attn_stream_k_fixup_generalILi128ELi2ELi1EEvPfPK15HIP_vector_typeIfLj2EEiiiiS1_IjLj3EES5_S5_S5_
		.amdhsa_group_segment_fixed_size 0
		.amdhsa_private_segment_fixed_size 0
		.amdhsa_kernarg_size 336
		.amdhsa_user_sgpr_count 2
		.amdhsa_user_sgpr_dispatch_ptr 0
		.amdhsa_user_sgpr_queue_ptr 0
		.amdhsa_user_sgpr_kernarg_segment_ptr 1
		.amdhsa_user_sgpr_dispatch_id 0
		.amdhsa_user_sgpr_kernarg_preload_length 0
		.amdhsa_user_sgpr_kernarg_preload_offset 0
		.amdhsa_user_sgpr_private_segment_size 0
		.amdhsa_uses_dynamic_stack 0
		.amdhsa_enable_private_segment 0
		.amdhsa_system_sgpr_workgroup_id_x 1
		.amdhsa_system_sgpr_workgroup_id_y 1
		.amdhsa_system_sgpr_workgroup_id_z 1
		.amdhsa_system_sgpr_workgroup_info 0
		.amdhsa_system_vgpr_workitem_id 0
		.amdhsa_next_free_vgpr 18
		.amdhsa_next_free_sgpr 36
		.amdhsa_accum_offset 20
		.amdhsa_reserve_vcc 1
		.amdhsa_float_round_mode_32 0
		.amdhsa_float_round_mode_16_64 0
		.amdhsa_float_denorm_mode_32 3
		.amdhsa_float_denorm_mode_16_64 3
		.amdhsa_dx10_clamp 1
		.amdhsa_ieee_mode 1
		.amdhsa_fp16_overflow 0
		.amdhsa_tg_split 0
		.amdhsa_exception_fp_ieee_invalid_op 0
		.amdhsa_exception_fp_denorm_src 0
		.amdhsa_exception_fp_ieee_div_zero 0
		.amdhsa_exception_fp_ieee_overflow 0
		.amdhsa_exception_fp_ieee_underflow 0
		.amdhsa_exception_fp_ieee_inexact 0
		.amdhsa_exception_int_div_zero 0
	.end_amdhsa_kernel
	.section	.text._ZL33flash_attn_stream_k_fixup_generalILi128ELi2ELi1EEvPfPK15HIP_vector_typeIfLj2EEiiiiS1_IjLj3EES5_S5_S5_,"axG",@progbits,_ZL33flash_attn_stream_k_fixup_generalILi128ELi2ELi1EEvPfPK15HIP_vector_typeIfLj2EEiiiiS1_IjLj3EES5_S5_S5_,comdat
.Lfunc_end21:
	.size	_ZL33flash_attn_stream_k_fixup_generalILi128ELi2ELi1EEvPfPK15HIP_vector_typeIfLj2EEiiiiS1_IjLj3EES5_S5_S5_, .Lfunc_end21-_ZL33flash_attn_stream_k_fixup_generalILi128ELi2ELi1EEvPfPK15HIP_vector_typeIfLj2EEiiiiS1_IjLj3EES5_S5_S5_
                                        ; -- End function
	.set _ZL33flash_attn_stream_k_fixup_generalILi128ELi2ELi1EEvPfPK15HIP_vector_typeIfLj2EEiiiiS1_IjLj3EES5_S5_S5_.num_vgpr, 18
	.set _ZL33flash_attn_stream_k_fixup_generalILi128ELi2ELi1EEvPfPK15HIP_vector_typeIfLj2EEiiiiS1_IjLj3EES5_S5_S5_.num_agpr, 0
	.set _ZL33flash_attn_stream_k_fixup_generalILi128ELi2ELi1EEvPfPK15HIP_vector_typeIfLj2EEiiiiS1_IjLj3EES5_S5_S5_.numbered_sgpr, 36
	.set _ZL33flash_attn_stream_k_fixup_generalILi128ELi2ELi1EEvPfPK15HIP_vector_typeIfLj2EEiiiiS1_IjLj3EES5_S5_S5_.num_named_barrier, 0
	.set _ZL33flash_attn_stream_k_fixup_generalILi128ELi2ELi1EEvPfPK15HIP_vector_typeIfLj2EEiiiiS1_IjLj3EES5_S5_S5_.private_seg_size, 0
	.set _ZL33flash_attn_stream_k_fixup_generalILi128ELi2ELi1EEvPfPK15HIP_vector_typeIfLj2EEiiiiS1_IjLj3EES5_S5_S5_.uses_vcc, 1
	.set _ZL33flash_attn_stream_k_fixup_generalILi128ELi2ELi1EEvPfPK15HIP_vector_typeIfLj2EEiiiiS1_IjLj3EES5_S5_S5_.uses_flat_scratch, 0
	.set _ZL33flash_attn_stream_k_fixup_generalILi128ELi2ELi1EEvPfPK15HIP_vector_typeIfLj2EEiiiiS1_IjLj3EES5_S5_S5_.has_dyn_sized_stack, 0
	.set _ZL33flash_attn_stream_k_fixup_generalILi128ELi2ELi1EEvPfPK15HIP_vector_typeIfLj2EEiiiiS1_IjLj3EES5_S5_S5_.has_recursion, 0
	.set _ZL33flash_attn_stream_k_fixup_generalILi128ELi2ELi1EEvPfPK15HIP_vector_typeIfLj2EEiiiiS1_IjLj3EES5_S5_S5_.has_indirect_call, 0
	.section	.AMDGPU.csdata,"",@progbits
; Kernel info:
; codeLenInByte = 2932
; TotalNumSgprs: 42
; NumVgprs: 18
; NumAgprs: 0
; TotalNumVgprs: 18
; ScratchSize: 0
; MemoryBound: 0
; FloatMode: 240
; IeeeMode: 1
; LDSByteSize: 0 bytes/workgroup (compile time only)
; SGPRBlocks: 5
; VGPRBlocks: 2
; NumSGPRsForWavesPerEU: 42
; NumVGPRsForWavesPerEU: 18
; AccumOffset: 20
; Occupancy: 8
; WaveLimiterHint : 0
; COMPUTE_PGM_RSRC2:SCRATCH_EN: 0
; COMPUTE_PGM_RSRC2:USER_SGPR: 2
; COMPUTE_PGM_RSRC2:TRAP_HANDLER: 0
; COMPUTE_PGM_RSRC2:TGID_X_EN: 1
; COMPUTE_PGM_RSRC2:TGID_Y_EN: 1
; COMPUTE_PGM_RSRC2:TGID_Z_EN: 1
; COMPUTE_PGM_RSRC2:TIDIG_COMP_CNT: 0
; COMPUTE_PGM_RSRC3_GFX90A:ACCUM_OFFSET: 4
; COMPUTE_PGM_RSRC3_GFX90A:TG_SPLIT: 0
	.section	.text._ZL18flash_attn_ext_vecILi128ELi2EL9ggml_type3ELS0_30ELb1EEvPKcS2_S2_S2_S2_PKiPfP15HIP_vector_typeIfLj2EEffffjfiS6_IjLj3EEiiiiiiiiiiiliiliiiiil,"axG",@progbits,_ZL18flash_attn_ext_vecILi128ELi2EL9ggml_type3ELS0_30ELb1EEvPKcS2_S2_S2_S2_PKiPfP15HIP_vector_typeIfLj2EEffffjfiS6_IjLj3EEiiiiiiiiiiiliiliiiiil,comdat
	.globl	_ZL18flash_attn_ext_vecILi128ELi2EL9ggml_type3ELS0_30ELb1EEvPKcS2_S2_S2_S2_PKiPfP15HIP_vector_typeIfLj2EEffffjfiS6_IjLj3EEiiiiiiiiiiiliiliiiiil ; -- Begin function _ZL18flash_attn_ext_vecILi128ELi2EL9ggml_type3ELS0_30ELb1EEvPKcS2_S2_S2_S2_PKiPfP15HIP_vector_typeIfLj2EEffffjfiS6_IjLj3EEiiiiiiiiiiiliiliiiiil
	.p2align	8
	.type	_ZL18flash_attn_ext_vecILi128ELi2EL9ggml_type3ELS0_30ELb1EEvPKcS2_S2_S2_S2_PKiPfP15HIP_vector_typeIfLj2EEffffjfiS6_IjLj3EEiiiiiiiiiiiliiliiiiil,@function
_ZL18flash_attn_ext_vecILi128ELi2EL9ggml_type3ELS0_30ELb1EEvPKcS2_S2_S2_S2_PKiPfP15HIP_vector_typeIfLj2EEffffjfiS6_IjLj3EEiiiiiiiiiiiliiliiiiil: ; @_ZL18flash_attn_ext_vecILi128ELi2EL9ggml_type3ELS0_30ELb1EEvPKcS2_S2_S2_S2_PKiPfP15HIP_vector_typeIfLj2EEffffjfiS6_IjLj3EEiiiiiiiiiiiliiliiiiil
; %bb.0:
	s_load_dwordx2 s[18:19], s[0:1], 0x64
	s_load_dwordx2 s[56:57], s[0:1], 0x80
	;; [unrolled: 1-line block ×3, first 2 shown]
	v_mov_b32_e32 v97, 1.0
	s_waitcnt lgkmcnt(0)
	v_cvt_f32_u32_e32 v1, s19
	s_sub_i32 s5, 0, s19
	v_rcp_iflag_f32_e32 v1, v1
	s_nop 0
	v_mul_f32_e32 v1, 0x4f7ffffe, v1
	v_cvt_u32_f32_e32 v1, v1
	s_nop 0
	v_readfirstlane_b32 s6, v1
	s_mul_i32 s5, s5, s6
	s_mul_hi_u32 s5, s6, s5
	s_add_i32 s6, s6, s5
	s_mul_hi_u32 s5, s4, s6
	s_mul_i32 s6, s5, s19
	s_sub_i32 s6, s4, s6
	s_add_i32 s7, s5, 1
	s_sub_i32 s8, s6, s19
	s_cmp_ge_u32 s6, s19
	s_cselect_b32 s5, s7, s5
	s_cselect_b32 s6, s8, s6
	s_add_i32 s7, s5, 1
	s_cmp_ge_u32 s6, s19
	s_cselect_b32 s33, s7, s5
	s_abs_i32 s5, s57
	v_cvt_f32_u32_e32 v1, s5
	s_mul_i32 s8, s33, s19
	s_sub_i32 s9, 0, s5
	s_sub_i32 s20, s4, s8
	v_rcp_iflag_f32_e32 v1, v1
	s_abs_i32 s7, s19
	s_xor_b32 s6, s19, s57
	s_ashr_i32 s6, s6, 31
	v_mul_f32_e32 v1, 0x4f7ffffe, v1
	v_cvt_u32_f32_e32 v1, v1
	s_nop 0
	v_readfirstlane_b32 s4, v1
	s_mul_i32 s9, s9, s4
	s_mul_hi_u32 s8, s4, s9
	s_add_i32 s4, s4, s8
	s_mul_hi_u32 s4, s7, s4
	s_mul_i32 s8, s4, s5
	s_sub_i32 s7, s7, s8
	s_add_i32 s9, s4, 1
	s_sub_i32 s8, s7, s5
	s_cmp_ge_u32 s7, s5
	s_cselect_b32 s4, s9, s4
	s_cselect_b32 s7, s8, s7
	s_add_i32 s8, s4, 1
	s_cmp_ge_u32 s7, s5
	s_cselect_b32 s4, s8, s4
	s_xor_b32 s4, s4, s6
	s_sub_i32 s28, s4, s6
	s_abs_i32 s26, s24
	s_abs_i32 s27, s28
	v_cvt_f32_u32_e32 v1, s26
	v_cvt_f32_u32_e32 v2, s27
	s_load_dwordx4 s[8:11], s[0:1], 0x40
	s_load_dwordx2 s[22:23], s[0:1], 0x50
	v_rcp_iflag_f32_e32 v1, v1
	v_rcp_iflag_f32_e32 v2, v2
	s_waitcnt lgkmcnt(0)
	v_cmp_le_f32_e64 s[4:5], s9, 0
	s_and_b64 vcc, exec, s[4:5]
	v_mul_f32_e32 v1, 0x4f7ffffe, v1
	v_mul_f32_e32 v2, 0x4f7ffffe, v2
	v_cvt_u32_f32_e32 v1, v1
	v_cvt_u32_f32_e32 v2, v2
	v_readfirstlane_b32 s12, v1
	v_readfirstlane_b32 s13, v2
	s_cbranch_vccnz .LBB22_2
; %bb.1:
	v_mov_b32_e32 v1, s22
	v_sub_co_u32_e32 v1, vcc, s20, v1
	v_mov_b32_e32 v2, s11
	v_mov_b32_e32 v3, s10
	s_add_i32 s4, s20, 1
	v_lshlrev_b32_e32 v1, 1, v1
	v_cndmask_b32_e32 v2, v2, v3, vcc
	v_or_b32_e32 v1, 1, v1
	v_mov_b32_e32 v3, s4
	v_cndmask_b32_e32 v1, v1, v3, vcc
	v_cvt_f32_i32_e32 v1, v1
	v_cmp_neq_f32_e32 vcc, 1.0, v2
	s_mov_b32 s4, 0x3f2aaaab
	s_movk_i32 s6, 0x204
	v_cndmask_b32_e32 v1, 1.0, v1, vcc
	v_cmp_neq_f32_e32 vcc, 0, v1
	s_mov_b32 s5, 0x42b17218
	s_mov_b32 s7, 0x3fb8aa3b
	v_cndmask_b32_e32 v18, 1.0, v2, vcc
	v_frexp_mant_f32_e64 v2, |v18|
	v_cmp_gt_f32_e32 vcc, s4, v2
	s_mov_b32 s4, 0x3f317218
	s_brev_b32 s14, -2
	v_cndmask_b32_e64 v3, 1.0, 2.0, vcc
	v_mul_f32_e32 v2, v2, v3
	v_add_f32_e32 v5, 1.0, v2
	v_rcp_f32_e32 v10, v5
	v_add_f32_e32 v3, -1.0, v5
	v_sub_f32_e32 v7, v2, v3
	v_add_f32_e32 v3, -1.0, v2
	v_mul_f32_e32 v11, v3, v10
	v_mul_f32_e32 v4, v5, v11
	v_fma_f32 v6, v11, v5, -v4
	v_fmac_f32_e32 v6, v11, v7
	v_add_f32_e32 v2, v4, v6
	v_sub_f32_e32 v5, v3, v2
	v_pk_add_f32 v[8:9], v[2:3], v[4:5] neg_lo:[0,1] neg_hi:[0,1]
	v_mov_b32_e32 v7, v2
	v_pk_add_f32 v[2:3], v[8:9], v[6:7] neg_lo:[0,1] neg_hi:[0,1]
	v_mov_b32_e32 v6, 0x3e91f4c4
	v_add_f32_e32 v2, v2, v3
	v_add_f32_e32 v2, v5, v2
	v_mul_f32_e32 v3, v10, v2
	v_add_f32_e32 v2, v11, v3
	v_sub_f32_e32 v4, v2, v11
	v_sub_f32_e32 v12, v3, v4
	v_mul_f32_e32 v3, v2, v2
	v_fma_f32 v5, v2, v2, -v3
	v_add_f32_e32 v4, v12, v12
	v_fmac_f32_e32 v5, v2, v4
	v_add_f32_e32 v4, v3, v5
	v_fmac_f32_e32 v6, 0x3e76c4e1, v4
	v_fmaak_f32 v6, v4, v6, 0x3ecccdef
	v_sub_f32_e32 v3, v4, v3
	v_sub_f32_e32 v13, v5, v3
	v_mul_f32_e32 v3, v4, v6
	v_fma_f32 v5, v4, v6, -v3
	v_fmac_f32_e32 v5, v13, v6
	v_add_f32_e32 v6, v3, v5
	v_add_f32_e32 v7, 0x3f2aaaaa, v6
	v_sub_f32_e32 v3, v6, v3
	v_sub_f32_e32 v3, v5, v3
	v_add_f32_e32 v5, 0xbf2aaaaa, v7
	v_add_f32_e32 v3, 0x31739010, v3
	v_sub_f32_e32 v5, v6, v5
	v_pk_mul_f32 v[8:9], v[2:3], v[4:5]
	v_pk_add_f32 v[10:11], v[2:3], v[4:5]
	v_fma_f32 v6, v4, v2, -v8
	v_fmac_f32_e32 v6, v4, v12
	v_mov_b32_e32 v9, v11
	v_fmac_f32_e32 v6, v13, v2
	v_pk_add_f32 v[4:5], v[8:9], v[6:7]
	v_ldexp_f32 v14, v12, 1
	v_sub_f32_e32 v3, v4, v8
	v_sub_f32_e32 v3, v6, v3
	;; [unrolled: 1-line block ×3, first 2 shown]
	v_add_f32_e32 v9, v11, v6
	v_pk_mul_f32 v[6:7], v[4:5], v[4:5] op_sel:[0,1] op_sel_hi:[1,0]
	v_cvt_f64_f32_e64 v[10:11], |v18|
	v_frexp_exp_i32_f64_e32 v7, v[10:11]
	v_subbrev_co_u32_e32 v7, vcc, 0, v7, vcc
	v_cvt_f32_i32_e32 v7, v7
	v_fma_f32 v8, v4, v5, -v6
	v_fmac_f32_e32 v8, v4, v9
	v_fmac_f32_e32 v8, v3, v5
	v_mul_f32_e32 v4, 0x3f317218, v7
	v_fma_f32 v3, v7, s4, -v4
	v_fmamk_f32 v10, v7, 0xb102e308, v3
	v_ldexp_f32 v11, v2, 1
	v_add_f32_e32 v5, v6, v8
	v_pk_add_f32 v[2:3], v[4:5], v[10:11]
	v_mov_b32_e32 v12, v5
	v_mov_b32_e32 v13, v3
	;; [unrolled: 1-line block ×3, first 2 shown]
	v_pk_add_f32 v[6:7], v[12:13], v[6:7] neg_lo:[0,1] neg_hi:[0,1]
	v_mov_b32_e32 v9, v5
	v_pk_add_f32 v[6:7], v[8:9], v[6:7] neg_lo:[0,1] neg_hi:[0,1]
	v_mov_b32_e32 v11, v2
	v_add_f32_e32 v5, v14, v6
	v_add_f32_e32 v5, v5, v7
	v_pk_add_f32 v[6:7], v[2:3], v[4:5] neg_lo:[0,1] neg_hi:[0,1]
	v_pk_add_f32 v[8:9], v[2:3], v[4:5]
	v_mov_b32_e32 v16, v3
	v_mov_b32_e32 v7, v9
	v_pk_add_f32 v[12:13], v[10:11], v[6:7] neg_lo:[0,1] neg_hi:[0,1]
	v_pk_add_f32 v[6:7], v[10:11], v[6:7]
	v_mov_b32_e32 v4, v5
	v_pk_add_f32 v[10:11], v[6:7], v[2:3] op_sel:[1,0] op_sel_hi:[0,1] neg_lo:[0,1] neg_hi:[0,1]
	v_pk_add_f32 v[14:15], v[8:9], v[10:11] op_sel_hi:[1,0] neg_lo:[0,1] neg_hi:[0,1]
	v_mov_b32_e32 v8, v9
	v_mov_b32_e32 v9, v7
	;; [unrolled: 1-line block ×3, first 2 shown]
	v_pk_add_f32 v[8:9], v[8:9], v[16:17] neg_lo:[0,1] neg_hi:[0,1]
	v_mov_b32_e32 v5, v2
	v_pk_add_f32 v[2:3], v[4:5], v[8:9] neg_lo:[0,1] neg_hi:[0,1]
	v_mov_b32_e32 v14, v12
	v_pk_add_f32 v[4:5], v[14:15], v[2:3]
	v_mov_b32_e32 v13, v7
	v_pk_add_f32 v[8:9], v[4:5], v[4:5] op_sel:[0,1] op_sel_hi:[1,0]
	s_mov_b32 s4, 0x7f800000
	v_pk_add_f32 v[6:7], v[6:7], v[8:9] op_sel:[1,0] op_sel_hi:[0,1]
	v_mov_b32_e32 v5, v6
	v_pk_add_f32 v[10:11], v[4:5], v[12:13] neg_lo:[0,1] neg_hi:[0,1]
	v_mov_b32_e32 v3, v8
	v_sub_f32_e32 v4, v4, v10
	v_pk_add_f32 v[2:3], v[2:3], v[10:11] neg_lo:[0,1] neg_hi:[0,1]
	v_sub_f32_e32 v4, v12, v4
	v_add_f32_e32 v2, v2, v4
	v_add_f32_e32 v2, v2, v3
	;; [unrolled: 1-line block ×3, first 2 shown]
	v_sub_f32_e32 v4, v3, v6
	v_sub_f32_e32 v2, v2, v4
	v_mul_f32_e32 v4, v1, v3
	v_fma_f32 v3, v1, v3, -v4
	v_fmac_f32_e32 v3, v1, v2
	v_add_f32_e32 v2, v4, v3
	v_cmp_class_f32_e64 vcc, v4, s6
	v_sub_f32_e32 v5, v2, v4
	v_sub_f32_e32 v3, v3, v5
	v_cndmask_b32_e32 v2, v2, v4, vcc
	v_mov_b32_e32 v4, 0x37000000
	v_cmp_eq_f32_e32 vcc, s5, v2
	v_cmp_class_f32_e64 s[10:11], v18, s6
	s_nop 0
	v_cndmask_b32_e32 v4, 0, v4, vcc
	v_sub_f32_e32 v5, v2, v4
	v_mul_f32_e32 v6, 0x3fb8aa3b, v5
	v_fma_f32 v7, v5, s7, -v6
	v_rndne_f32_e32 v8, v6
	v_fmamk_f32 v7, v5, 0x32a5705f, v7
	v_sub_f32_e32 v6, v6, v8
	v_add_f32_e32 v6, v6, v7
	v_exp_f32_e32 v6, v6
	v_cvt_i32_f32_e32 v7, v8
	v_cmp_neq_f32_e64 vcc, |v2|, s4
	s_mov_b32 s4, 0xc2ce8ed0
	s_nop 0
	v_cndmask_b32_e32 v2, 0, v3, vcc
	v_ldexp_f32 v3, v6, v7
	v_cmp_ngt_f32_e32 vcc, s4, v5
	v_add_f32_e32 v2, v4, v2
	v_mov_b32_e32 v4, 0x7f800000
	v_cndmask_b32_e32 v3, 0, v3, vcc
	v_cmp_nlt_f32_e32 vcc, s5, v5
	v_mov_b32_e32 v5, 0x7fc00000
	s_nop 0
	v_cndmask_b32_e32 v3, v4, v3, vcc
	v_fma_f32 v2, v3, v2, v3
	v_cmp_class_f32_e64 vcc, v3, s6
	v_cmp_gt_f32_e64 s[6:7], 0, v1
	s_nop 0
	v_cndmask_b32_e32 v2, v2, v3, vcc
	v_trunc_f32_e32 v3, v1
	v_cmp_eq_f32_e32 vcc, v3, v1
	v_mul_f32_e32 v3, 0.5, v1
	v_trunc_f32_e32 v6, v3
	v_cmp_neq_f32_e64 s[4:5], v6, v3
	s_and_b64 s[4:5], vcc, s[4:5]
	s_nop 0
	v_cndmask_b32_e64 v3, 1.0, v18, s[4:5]
	v_bfi_b32 v2, s14, v2, v3
	v_cndmask_b32_e32 v3, v5, v2, vcc
	v_cmp_gt_f32_e32 vcc, 0, v18
	s_nop 1
	v_cndmask_b32_e32 v2, v2, v3, vcc
	v_cmp_eq_f32_e32 vcc, 0, v18
	s_xor_b64 s[6:7], s[6:7], vcc
	v_cndmask_b32_e64 v1, v4, 0, s[6:7]
	v_cndmask_b32_e64 v3, 0, v18, s[4:5]
	v_bfi_b32 v1, s14, v1, v3
	s_or_b64 vcc, vcc, s[10:11]
	v_cndmask_b32_e32 v1, v2, v1, vcc
	v_cmp_o_f32_e32 vcc, v18, v18
	s_nop 1
	v_cndmask_b32_e32 v97, v5, v1, vcc
.LBB22_2:
	s_load_dwordx16 s[36:51], s[0:1], 0x0
	s_mov_b32 s4, 0
	s_mov_b32 s5, s4
	v_bfe_u32 v95, v0, 10, 10
	v_and_b32_e32 v92, 0x3ff, v0
	v_mov_b32_e32 v33, 0
	s_mov_b32 s6, s4
	s_mov_b32 s7, s4
	v_mov_b64_e32 v[0:1], s[4:5]
	s_lshl_b32 s22, s2, 1
	v_mov_b64_e32 v[2:3], s[6:7]
	v_mov_b32_e32 v32, v33
	v_mov_b32_e32 v34, v33
	v_cmp_lt_u32_e64 s[16:17], 1, v95
	v_cmp_gt_u32_e32 vcc, 2, v95
	v_lshlrev_b32_e32 v96, 2, v92
	scratch_store_dword off, v33, off
	scratch_store_dwordx4 off, v[0:3], off offset:4
	scratch_store_dwordx4 off, v[0:3], off offset:20
	;; [unrolled: 1-line block ×3, first 2 shown]
	scratch_store_dwordx3 off, v[32:34], off offset:52
	s_and_saveexec_b64 s[4:5], vcc
	s_cbranch_execz .LBB22_13
; %bb.3:
	v_lshlrev_b32_e32 v5, 8, v95
	v_or_b32_e32 v0, s22, v95
	v_cmp_le_i32_e32 vcc, s18, v0
	v_add_u32_e32 v4, v5, v96
	s_and_saveexec_b64 s[6:7], vcc
	s_xor_b64 s[6:7], exec, s[6:7]
	s_cbranch_execz .LBB22_7
; %bb.4:
	v_cmp_gt_u32_e32 vcc, 4, v92
	v_mov_b32_e32 v0, 0
	ds_write_b32 v4, v0
	s_and_saveexec_b64 s[10:11], vcc
; %bb.5:
	v_add_u32_e32 v2, v4, v96
	v_mov_b32_e32 v1, v0
	ds_write_b64 v2, v[0:1] offset:128
; %bb.6:
	s_or_b64 exec, exec, s[10:11]
                                        ; implicit-def: $vgpr4
                                        ; implicit-def: $vgpr5
.LBB22_7:
	s_andn2_saveexec_b64 s[6:7], s[6:7]
	s_cbranch_execz .LBB22_13
; %bb.8:
	s_load_dwordx4 s[52:55], s[0:1], 0x70
	v_lshlrev_b32_e32 v2, 2, v96
	v_mov_b32_e32 v3, 0
	s_waitcnt lgkmcnt(0)
	s_mul_i32 s6, s33, s54
	s_mul_i32 s10, s52, s22
	s_mul_i32 s7, s20, s53
	s_add_i32 s6, s6, s10
	s_add_i32 s6, s6, s7
	s_ashr_i32 s7, s6, 31
	v_mul_lo_u32 v0, s52, v95
	s_add_u32 s6, s36, s6
	v_ashrrev_i32_e32 v1, 31, v0
	s_addc_u32 s7, s37, s7
	v_lshl_add_u64 v[0:1], s[6:7], 0, v[0:1]
	v_lshl_add_u64 v[0:1], v[0:1], 0, v[2:3]
	global_load_dwordx4 v[10:13], v[0:1], off
	v_mbcnt_lo_u32_b32 v0, -1, 0
	v_mbcnt_hi_u32_b32 v2, -1, v0
	v_and_b32_e32 v0, 0x60, v2
	v_xor_b32_e32 v1, 4, v2
	v_add_u32_e32 v14, 32, v0
	v_xor_b32_e32 v6, 2, v2
	v_cmp_lt_i32_e32 vcc, v1, v14
	v_xor_b32_e32 v7, 1, v2
	s_waitcnt vmcnt(0)
	v_mul_f32_e32 v9, s8, v10
	v_cndmask_b32_e32 v0, v2, v1, vcc
	v_cmp_lt_i32_e32 vcc, v6, v14
	v_mul_f32_e32 v8, s8, v12
	s_nop 0
	v_cndmask_b32_e32 v1, v2, v6, vcc
	v_lshlrev_b32_e32 v6, 2, v0
	v_lshlrev_b32_e32 v15, 2, v1
	v_mov_b32_e32 v0, v13
	v_mov_b32_e32 v1, v11
	v_pk_mul_f32 v[0:1], s[8:9], v[0:1] op_sel_hi:[0,1]
	v_max_f32_e64 v11, |v9|, |v1|
	v_max3_f32 v11, v11, |v8|, |v0|
	ds_bpermute_b32 v13, v6, v11
	v_fma_f32 v10, s8, v10, v1
	v_fmac_f32_e32 v10, s8, v12
	v_add_f32_e32 v10, v10, v0
	ds_bpermute_b32 v6, v6, v10
	s_waitcnt lgkmcnt(1)
	v_max_f32_e32 v12, v13, v13
	v_max_f32_e32 v11, v11, v12
	ds_bpermute_b32 v12, v15, v11
	v_cmp_lt_i32_e32 vcc, v7, v14
	s_waitcnt lgkmcnt(1)
	v_add_f32_e32 v6, v10, v6
	s_mov_b32 s8, 0x42fe0000
	v_cndmask_b32_e32 v2, v2, v7, vcc
	s_waitcnt lgkmcnt(0)
	v_max_f32_e32 v10, v12, v12
	v_lshlrev_b32_e32 v2, 2, v2
	v_max_f32_e32 v10, v11, v10
	ds_bpermute_b32 v7, v15, v6
	ds_bpermute_b32 v11, v2, v10
	s_waitcnt lgkmcnt(1)
	v_add_f32_e32 v6, v6, v7
	s_waitcnt lgkmcnt(0)
	v_max_f32_e32 v7, v11, v11
	v_max_f32_e32 v10, v10, v7
	v_div_scale_f32 v11, s[6:7], s8, s8, v10
	v_rcp_f32_e32 v12, v11
	ds_bpermute_b32 v7, v2, v6
	v_div_scale_f32 v2, vcc, v10, s8, v10
	v_fma_f32 v13, -v11, v12, 1.0
	v_fmac_f32_e32 v12, v13, v12
	v_mul_f32_e32 v13, v2, v12
	v_fma_f32 v14, -v11, v13, v2
	v_fmac_f32_e32 v13, v14, v12
	v_fma_f32 v2, -v11, v13, v2
	v_div_fmas_f32 v2, v2, v12, v13
	v_div_fixup_f32 v2, v2, s8, v10
	v_cmp_neq_f32_e32 vcc, 0, v2
	s_and_saveexec_b64 s[6:7], vcc
	s_cbranch_execz .LBB22_10
; %bb.9:
	v_div_scale_f32 v3, s[8:9], v2, v2, v9
	v_rcp_f32_e32 v10, v3
	v_div_scale_f32 v11, vcc, v9, v2, v9
	s_brev_b32 s10, -2
	v_fma_f32 v12, -v3, v10, 1.0
	v_fmac_f32_e32 v10, v12, v10
	v_mul_f32_e32 v12, v11, v10
	v_fma_f32 v13, -v3, v12, v11
	v_fmac_f32_e32 v12, v13, v10
	v_fma_f32 v3, -v3, v12, v11
	v_div_fmas_f32 v3, v3, v10, v12
	v_div_fixup_f32 v3, v3, v2, v9
	v_trunc_f32_e32 v9, v3
	v_sub_f32_e32 v10, v3, v9
	v_cmp_ge_f32_e64 s[8:9], |v10|, 0.5
	s_nop 1
	v_cndmask_b32_e64 v10, 0, 1.0, s[8:9]
	v_div_scale_f32 v11, s[8:9], v2, v2, v0
	v_rcp_f32_e32 v12, v11
	v_bfi_b32 v3, s10, v10, v3
	v_add_f32_e32 v3, v9, v3
	v_cvt_i32_f32_e32 v3, v3
	v_fma_f32 v9, -v11, v12, 1.0
	v_fmac_f32_e32 v12, v9, v12
	v_div_scale_f32 v9, vcc, v0, v2, v0
	v_mul_f32_e32 v10, v9, v12
	v_fma_f32 v13, -v11, v10, v9
	v_fmac_f32_e32 v10, v13, v12
	v_div_scale_f32 v13, s[8:9], v2, v2, v1
	v_rcp_f32_e32 v14, v13
	v_fma_f32 v9, -v11, v10, v9
	v_div_fmas_f32 v9, v9, v12, v10
	v_div_fixup_f32 v0, v9, v2, v0
	v_fma_f32 v10, -v13, v14, 1.0
	v_fmac_f32_e32 v14, v10, v14
	v_div_scale_f32 v10, vcc, v1, v2, v1
	v_mul_f32_e32 v11, v10, v14
	v_fma_f32 v12, -v13, v11, v10
	v_fmac_f32_e32 v11, v12, v14
	v_div_scale_f32 v12, s[8:9], v2, v2, v8
	v_rcp_f32_e32 v15, v12
	v_fma_f32 v10, -v13, v11, v10
	v_div_fmas_f32 v10, v10, v14, v11
	v_div_fixup_f32 v1, v10, v2, v1
	v_fma_f32 v11, -v12, v15, 1.0
	v_fmac_f32_e32 v15, v11, v15
	v_div_scale_f32 v11, vcc, v8, v2, v8
	v_mul_f32_e32 v13, v11, v15
	v_fma_f32 v14, -v12, v13, v11
	v_fmac_f32_e32 v13, v14, v15
	v_fma_f32 v11, -v12, v13, v11
	v_div_fmas_f32 v11, v11, v15, v13
	v_div_fixup_f32 v8, v11, v2, v8
	v_trunc_f32_e32 v11, v8
	v_sub_f32_e32 v12, v8, v11
	v_trunc_f32_e32 v9, v1
	v_cmp_ge_f32_e64 s[8:9], |v12|, 0.5
	v_sub_f32_e32 v10, v1, v9
	v_and_b32_e32 v3, 0xff, v3
	v_cndmask_b32_e64 v12, 0, 1.0, s[8:9]
	v_cmp_ge_f32_e64 s[8:9], |v10|, 0.5
	v_bfi_b32 v8, s10, v12, v8
	v_add_f32_e32 v8, v11, v8
	v_cndmask_b32_e64 v10, 0, 1.0, s[8:9]
	v_bfi_b32 v1, s10, v10, v1
	v_add_f32_e32 v1, v9, v1
	v_trunc_f32_e32 v9, v0
	v_sub_f32_e32 v10, v0, v9
	v_cmp_ge_f32_e64 s[8:9], |v10|, 0.5
	v_cvt_i32_f32_e32 v8, v8
	v_cvt_i32_f32_e32 v1, v1
	v_cndmask_b32_e64 v10, 0, 1.0, s[8:9]
	v_bfi_b32 v0, s10, v10, v0
	v_add_f32_e32 v0, v9, v0
	v_cvt_i32_f32_e32 v0, v0
	v_and_b32_e32 v8, 0xff, v8
	v_lshlrev_b32_e32 v8, 16, v8
	v_mov_b32_e32 v9, 8
	v_lshlrev_b32_sdwa v1, v9, v1 dst_sel:DWORD dst_unused:UNUSED_PAD src0_sel:DWORD src1_sel:BYTE_0
	v_lshl_or_b32 v0, v0, 24, v8
	v_or3_b32 v3, v0, v1, v3
.LBB22_10:
	s_or_b64 exec, exec, s[6:7]
	v_and_b32_e32 v0, 7, v92
	v_cmp_eq_u32_e32 vcc, 0, v0
	ds_write_b32 v4, v3
	s_and_saveexec_b64 s[6:7], vcc
	s_cbranch_execz .LBB22_12
; %bb.11:
	s_waitcnt lgkmcnt(1)
	v_add_f32_e32 v3, v6, v7
	v_add_u32_e32 v0, v5, v92
	ds_write_b64 v0, v[2:3] offset:128
.LBB22_12:
	s_or_b64 exec, exec, s[6:7]
.LBB22_13:
	s_or_b64 exec, exec, s[4:5]
	v_and_b32_e32 v16, 3, v92
	v_lshlrev_b32_e32 v17, 2, v16
	s_waitcnt lgkmcnt(0)
	s_barrier
	ds_read2_b32 v[34:35], v17 offset1:4
	ds_read2_b32 v[36:37], v17 offset0:8 offset1:12
	ds_read_b128 v[0:3], v33 offset:128
	ds_read_b128 v[4:7], v33 offset:144
	ds_read2_b32 v[38:39], v17 offset0:16 offset1:20
	ds_read2_b32 v[40:41], v17 offset0:24 offset1:28
	;; [unrolled: 1-line block ×5, first 2 shown]
	ds_read_b128 v[8:11], v33 offset:384
	ds_read_b128 v[12:15], v33 offset:400
	ds_read2_b32 v[48:49], v17 offset0:88 offset1:92
	s_cmp_eq_u64 s[46:47], 0
	s_mov_b32 s21, s56
	s_waitcnt lgkmcnt(0)
	s_barrier
	s_cbranch_scc1 .LBB22_15
; %bb.14:
	s_load_dword s4, s[0:1], 0xd0
	s_mov_b32 s5, 0
	s_waitcnt lgkmcnt(0)
	s_mul_i32 s4, s4, s33
	s_add_i32 s4, s4, s2
	s_lshl_b64 s[4:5], s[4:5], 2
	s_add_u32 s4, s46, s4
	s_addc_u32 s5, s47, s5
	s_load_dword s21, s[4:5], 0x0
.LBB22_15:
	v_lshlrev_b32_e32 v99, 5, v95
	v_add_u32_e32 v93, v99, v92
	s_lshl_b32 s24, s3, 7
	s_waitcnt lgkmcnt(0)
	s_cmp_ge_i32 s24, s21
	v_mbcnt_lo_u32_b32 v98, -1, 0
	v_lshlrev_b32_e32 v94, 1, v93
	s_cbranch_scc1 .LBB22_67
; %bb.16:
	s_sub_i32 s2, 0, s27
	s_sub_i32 s4, 0, s26
	s_mul_i32 s2, s2, s13
	s_mul_i32 s4, s4, s12
	s_mul_hi_u32 s2, s13, s2
	s_mul_hi_u32 s4, s12, s4
	s_abs_i32 s6, s20
	s_add_i32 s13, s13, s2
	s_abs_i32 s7, s33
	s_add_i32 s12, s12, s4
	s_mul_hi_u32 s8, s6, s13
	s_mul_hi_u32 s9, s7, s12
	s_load_dwordx2 s[10:11], s[0:1], 0x8c
	s_load_dwordx4 s[12:15], s[0:1], 0x98
	s_ashr_i32 s29, s20, 31
	s_ashr_i32 s28, s28, 31
	s_ashr_i32 s64, s33, 31
	s_xor_b32 s28, s29, s28
	s_waitcnt lgkmcnt(0)
	s_mul_i32 s13, s13, s33
	s_mul_i32 s30, s12, s64
	;; [unrolled: 1-line block ×3, first 2 shown]
	s_mul_hi_u32 s2, s12, s33
	s_add_i32 s65, s30, s13
	s_sub_i32 s6, s6, s29
	s_add_i32 s2, s65, s2
	s_add_i32 s29, s8, 1
	s_sub_i32 s30, s6, s27
	s_cmp_ge_u32 s6, s27
	s_cselect_b32 s8, s29, s8
	s_cselect_b32 s6, s30, s6
	s_add_i32 s29, s8, 1
	s_cmp_ge_u32 s6, s27
	s_cselect_b32 s6, s29, s8
	s_xor_b32 s6, s6, s28
	s_sub_i32 s6, s6, s28
	s_mul_i32 s9, s9, s26
	s_mul_i32 s60, s6, s11
	;; [unrolled: 1-line block ×3, first 2 shown]
	s_sub_i32 s6, s7, s9
	s_ashr_i32 s61, s60, 31
	s_ashr_i32 s59, s58, 31
	s_sub_i32 s7, s6, s26
	s_cmp_ge_u32 s6, s26
	s_cselect_b32 s6, s7, s6
	s_sub_i32 s7, s6, s26
	s_load_dwordx2 s[4:5], s[0:1], 0xc8
	s_cmp_ge_u32 s6, s26
	s_cselect_b32 s6, s7, s6
	s_xor_b32 s6, s6, s64
	s_sub_i32 s6, s6, s64
	s_ashr_i32 s7, s6, 31
	s_load_dwordx2 s[62:63], s[0:1], 0xa8
	s_load_dword s8, s[0:1], 0xd4
	v_and_b32_e32 v17, 0x7c, v92
	s_waitcnt lgkmcnt(0)
	s_mul_i32 s7, s4, s7
	s_mul_hi_u32 s9, s4, s6
	v_add_u32_e32 v18, v99, v17
	v_mbcnt_hi_u32_b32 v17, -1, v98
	s_add_i32 s7, s9, s7
	s_mul_i32 s5, s5, s6
	s_mul_i32 s26, s25, s22
	v_and_b32_e32 v19, 0x7c, v17
	s_add_i32 s15, s7, s5
	s_ashr_i32 s27, s26, 31
	v_add_u32_e32 v19, 4, v19
	v_xor_b32_e32 v20, 2, v17
	v_cmp_lt_i32_e32 vcc, v20, v19
	s_cmp_lg_u64 s[42:43], 0
	s_mul_i32 s72, s4, s6
	v_cndmask_b32_e32 v20, v17, v20, vcc
	s_cselect_b64 s[6:7], -1, 0
	s_lshl_b32 s34, s8, 7
	v_lshlrev_b32_e32 v100, 2, v20
	v_xor_b32_e32 v20, 1, v17
	s_cmp_lt_i32 s22, s18
	v_cmp_lt_i32_e32 vcc, v20, v19
	s_cselect_b64 s[8:9], -1, 0
	s_and_b64 s[52:53], s[6:7], s[8:9]
	v_cndmask_b32_e32 v19, v17, v20, vcc
	v_mul_lo_u32 v20, v18, s10
	s_or_b32 s8, s22, 1
	s_cmp_lt_i32 s8, s18
	v_add_u32_e32 v24, s10, v20
	v_lshlrev_b32_e32 v101, 2, v19
	v_and_b32_e32 v19, 0x60, v17
	s_cselect_b64 s[8:9], -1, 0
	v_add_u32_e32 v26, s10, v24
	s_mul_i32 s30, s10, s24
	v_add_u32_e32 v19, 32, v19
	s_mul_i32 s36, s34, s10
	v_cmp_eq_u32_e64 s[4:5], 0, v16
	s_and_b64 s[54:55], s[6:7], s[8:9]
	v_cmp_eq_u32_e64 s[6:7], 1, v16
	v_cmp_eq_u32_e64 s[8:9], 2, v16
	v_add_u32_e32 v28, s10, v26
	v_cmp_eq_u32_e64 s[10:11], 3, v16
	v_xor_b32_e32 v16, 4, v17
	v_cmp_lt_i32_e32 vcc, v16, v19
	s_ashr_i32 s57, s56, 31
	s_mov_b32 s25, 0
	v_cndmask_b32_e32 v16, v17, v16, vcc
	v_lshlrev_b32_e32 v102, 2, v16
	v_xor_b32_e32 v16, 8, v17
	v_cmp_lt_i32_e32 vcc, v16, v19
	v_mov_b32_e32 v33, 0
	v_lshrrev_b32_e32 v30, 3, v92
	v_cndmask_b32_e32 v16, v17, v16, vcc
	v_lshlrev_b32_e32 v103, 2, v16
	v_xor_b32_e32 v16, 16, v17
	v_cmp_lt_i32_e32 vcc, v16, v19
	s_add_u32 s66, s38, s60
	v_and_b32_e32 v32, 12, v96
	v_cndmask_b32_e32 v16, v17, v16, vcc
	v_lshlrev_b32_e32 v104, 2, v16
	v_or_b32_e32 v16, v99, v30
	v_mov_b32_e32 v19, v33
	v_mov_b32_e32 v66, s33
	s_addc_u32 s67, s39, s61
	s_lshl_b64 s[68:69], s[24:25], 1
	s_mul_i32 s13, s12, s33
	v_add_u32_e32 v22, s56, v18
	v_lshlrev_b32_e32 v105, 1, v16
	v_add_u32_e32 v86, v99, v30
	v_lshl_add_u64 v[16:17], s[56:57], 0, v[18:19]
	v_mad_u64_u32 v[30:31], s[56:57], s12, v66, v[32:33]
	s_add_u32 s12, s42, s68
	s_mov_b32 s29, s25
	s_mov_b32 s31, s25
	;; [unrolled: 1-line block ×5, first 2 shown]
	s_addc_u32 s25, s43, s69
	s_add_u32 s70, s12, s72
	s_addc_u32 s71, s25, s15
	s_lshl_b64 s[56:57], s[34:35], 1
	s_add_u32 s12, s72, s68
	v_ashrrev_i32_e32 v25, 31, v24
	v_add_u32_e32 v31, s65, v31
	s_addc_u32 s15, s15, s69
	s_add_u32 s42, s42, s12
	v_lshl_add_u64 v[60:61], v[16:17], 1, s[70:71]
	v_lshl_add_u64 v[16:17], v[30:31], 0, v[24:25]
	v_lshlrev_b32_e32 v32, 1, v18
	s_addc_u32 s43, s43, s15
	v_lshl_add_u64 v[64:65], s[66:67], 0, v[16:17]
	v_and_b32_e32 v16, 7, v92
	v_lshl_add_u64 v[54:55], s[42:43], 0, v[32:33]
	s_add_u32 s42, s66, s13
	v_lshlrev_b32_e32 v32, 4, v16
	s_mul_i32 s12, s63, s33
	s_mul_i32 s15, s62, s64
	v_ashrrev_i32_e32 v23, 31, v22
	v_ashrrev_i32_e32 v27, 31, v26
	s_addc_u32 s43, s67, s2
	s_add_i32 s15, s15, s12
	v_mad_u64_u32 v[16:17], s[62:63], s62, v66, v[32:33]
	v_lshl_add_u64 v[52:53], v[22:23], 1, s[70:71]
	v_lshl_add_u64 v[18:19], v[30:31], 0, v[26:27]
	v_add_u32_e32 v17, s15, v17
	v_mul_lo_u32 v22, s14, v86
	v_lshl_add_u64 v[58:59], s[66:67], 0, v[18:19]
	v_lshl_add_u64 v[18:19], v[16:17], 0, s[58:59]
	v_ashrrev_i32_e32 v23, 31, v22
	s_add_u32 s12, s13, s60
	v_lshl_add_u64 v[18:19], v[18:19], 0, v[22:23]
	s_addc_u32 s2, s2, s61
	v_ashrrev_i32_e32 v21, 31, v20
	v_lshl_add_u64 v[66:67], s[40:41], 0, v[18:19]
	v_lshl_add_u64 v[18:19], v[30:31], 0, s[60:61]
	s_add_u32 s12, s38, s12
	v_lshl_add_u64 v[18:19], v[18:19], 0, v[20:21]
	s_addc_u32 s13, s39, s2
	v_lshl_add_u64 v[70:71], s[38:39], 0, v[18:19]
	v_lshl_add_u64 v[18:19], s[12:13], 0, v[20:21]
	;; [unrolled: 1-line block ×3, first 2 shown]
	v_add_u32_e32 v18, 4, v86
	v_mul_lo_u32 v18, s14, v18
	v_ashrrev_i32_e32 v19, 31, v18
	s_add_u32 s12, s40, s58
	v_lshl_add_u64 v[18:19], v[16:17], 0, v[18:19]
	s_addc_u32 s13, s41, s59
	v_lshl_add_u64 v[74:75], s[12:13], 0, v[18:19]
	v_add_u32_e32 v18, 28, v86
	v_mul_lo_u32 v18, s14, v18
	v_ashrrev_i32_e32 v19, 31, v18
	v_lshl_add_u64 v[18:19], v[16:17], 0, v[18:19]
	v_lshl_add_u64 v[76:77], s[12:13], 0, v[18:19]
	v_add_u32_e32 v18, 8, v86
	v_mul_lo_u32 v18, s14, v18
	v_ashrrev_i32_e32 v19, 31, v18
	v_lshl_add_u64 v[18:19], v[16:17], 0, v[18:19]
	;; [unrolled: 5-line block ×5, first 2 shown]
	v_lshl_add_u64 v[84:85], s[12:13], 0, v[18:19]
	v_add_u32_e32 v18, 16, v86
	v_mul_lo_u32 v18, s14, v18
	v_ashrrev_i32_e32 v29, 31, v28
	v_ashrrev_i32_e32 v19, 31, v18
	v_lshl_add_u64 v[50:51], v[30:31], 0, v[28:29]
	v_lshl_add_u64 v[16:17], v[16:17], 0, v[18:19]
	s_mul_i32 s28, s14, s24
	s_mul_i32 s46, s34, s14
	v_lshlrev_b32_e32 v106, 1, v86
	v_lshl_add_u64 v[50:51], s[66:67], 0, v[50:51]
	v_lshl_add_u64 v[56:57], s[42:43], 0, v[28:29]
	;; [unrolled: 1-line block ×5, first 2 shown]
	v_mov_b32_e32 v21, 0xfeffffff
	s_mov_b32 s2, 0x3f200000
	s_mov_b32 s25, 0x3fb8aa3b
	;; [unrolled: 1-line block ×4, first 2 shown]
	v_mov_b32_e32 v107, 0x3ca908c9
	s_brev_b32 s41, -2
	v_mov_b32_e32 v108, 0x7f800000
	v_mov_b32_e32 v32, v33
	;; [unrolled: 1-line block ×5, first 2 shown]
                                        ; implicit-def: $vgpr16
                                        ; implicit-def: $vgpr16
	;; [unrolled: 1-line block ×3, first 2 shown]
.LBB22_17:                              ; =>This Inner Loop Header: Depth=1
	v_lshl_add_u64 v[18:19], v[70:71], 0, s[30:31]
	v_lshl_add_u64 v[16:17], v[72:73], 0, s[30:31]
	global_load_dword v22, v[18:19], off offset:4
	global_load_dword v23, v[16:17], off offset:-60
	global_load_dword v24, v[18:19], off offset:24
	global_load_dword v25, v[16:17], off offset:-40
	;; [unrolled: 2-line block ×3, first 2 shown]
	global_load_dword v109, v[18:19], off offset:64
	global_load_dword v111, v[16:17], off
	v_mov_b32_e32 v16, 0
	v_mov_b32_e32 v17, 0
	;; [unrolled: 1-line block ×8, first 2 shown]
	s_waitcnt vmcnt(7)
	v_and_b32_e32 v110, 0xf0f0f0f, v22
	v_lshrrev_b32_e32 v22, 4, v22
	s_waitcnt vmcnt(6)
	v_cvt_f32_f16_sdwa v91, v23 dst_sel:DWORD dst_unused:UNUSED_PAD src0_sel:WORD_1
	v_cvt_f32_f16_e32 v90, v23
	s_waitcnt vmcnt(5)
	v_and_b32_e32 v31, 0xf0f0f0f, v24
	v_lshrrev_b32_e32 v24, 4, v24
	v_dot4c_i32_i8_e32 v16, v110, v34
	s_waitcnt vmcnt(0)
	v_cvt_f32_f16_e32 v18, v111
	v_cvt_f32_f16_sdwa v19, v111 dst_sel:DWORD dst_unused:UNUSED_PAD src0_sel:WORD_1
	v_and_b32_e32 v111, 0xf0f0f0f, v22
	v_dot4c_i32_i8_e32 v17, v111, v35
	v_cvt_f32_f16_sdwa v30, v25 dst_sel:DWORD dst_unused:UNUSED_PAD src0_sel:WORD_1
	v_and_b32_e32 v23, 0xf0f0f0f, v109
	v_lshrrev_b32_e32 v118, 4, v109
	v_and_b32_e32 v109, 0xf0f0f0f, v24
	v_cvt_f32_i32_e32 v16, v16
	v_cvt_f32_i32_e32 v17, v17
	v_cvt_f32_f16_e32 v29, v25
	v_and_b32_e32 v27, 0xf0f0f0f, v28
	v_lshrrev_b32_e32 v28, 4, v28
	v_dot4c_i32_i8_e32 v112, v31, v36
	v_dot4c_i32_i8_e32 v113, v109, v37
	v_cvt_f32_f16_e32 v25, v26
	v_cvt_f32_f16_sdwa v26, v26 dst_sel:DWORD dst_unused:UNUSED_PAD src0_sel:WORD_1
	v_and_b32_e32 v28, 0xf0f0f0f, v28
	v_cvt_f32_i32_e32 v112, v112
	v_cvt_f32_i32_e32 v113, v113
	v_mul_f32_e32 v119, v1, v91
	v_dot4c_i32_i8_e32 v114, v27, v38
	v_dot4c_i32_i8_e32 v115, v28, v39
	v_mul_f32_e32 v22, v0, v90
	v_mul_f32_e32 v125, v7, v19
	;; [unrolled: 1-line block ×3, first 2 shown]
	v_and_b32_e32 v24, 0xf0f0f0f, v118
	v_cvt_f32_i32_e32 v114, v114
	v_cvt_f32_i32_e32 v115, v115
	v_mul_f32_e32 v121, v3, v30
	v_pk_fma_f32 v[16:17], v[22:23], v[16:17], v[124:125] op_sel_hi:[0,1,0]
	v_dot4c_i32_i8_e32 v116, v23, v40
	v_dot4c_i32_i8_e32 v117, v24, v41
	v_mul_f32_e32 v118, v2, v29
	v_mul_f32_e32 v126, 0x3e000000, v121
	v_add_f32_e32 v16, 0, v16
	v_cvt_f32_i32_e32 v116, v116
	v_cvt_f32_i32_e32 v117, v117
	v_mul_f32_e32 v123, v5, v26
	v_pk_fma_f32 v[112:113], v[118:119], v[112:113], v[126:127] op_sel_hi:[0,1,0]
	v_add_f32_e32 v16, v16, v17
	v_mul_f32_e32 v120, v4, v25
	v_mul_f32_e32 v128, 0x3e000000, v123
	v_add_f32_e32 v16, v16, v112
	v_pk_fma_f32 v[114:115], v[120:121], v[114:115], v[128:129] op_sel_hi:[0,1,0]
	v_add_f32_e32 v16, v16, v113
	v_mul_f32_e32 v122, v6, v18
	v_mul_f32_e32 v130, 0x3e000000, v125
	v_add_f32_e32 v16, v16, v114
	v_add_f32_e32 v22, v16, v115
	v_pk_fma_f32 v[16:17], v[122:123], v[116:117], v[130:131] op_sel_hi:[0,1,0]
	v_add_f32_e32 v16, v22, v16
	v_add_f32_e32 v16, v16, v17
	ds_bpermute_b32 v17, v100, v16
	s_waitcnt lgkmcnt(0)
	v_add_f32_e32 v16, v16, v17
	ds_bpermute_b32 v17, v101, v16
	s_waitcnt lgkmcnt(0)
	v_add_f32_e32 v16, v16, v17
	v_cmp_nlt_f32_e64 s[12:13], |v16|, s2
                                        ; implicit-def: $vgpr17
	s_and_saveexec_b64 s[14:15], s[12:13]
	s_xor_b64 s[12:13], exec, s[14:15]
	s_cbranch_execz .LBB22_19
; %bb.18:                               ;   in Loop: Header=BB22_17 Depth=1
	v_add_f32_e64 v17, |v16|, |v16|
	v_mul_f32_e32 v22, 0x3fb8aa3b, v17
	v_rndne_f32_e32 v112, v22
	v_sub_f32_e32 v113, v22, v112
	v_fma_f32 v22, v17, s25, -v22
	v_fmac_f32_e32 v22, 0x32a5705f, v17
	v_add_f32_e32 v22, v113, v22
	v_cvt_i32_f32_e32 v112, v112
	v_exp_f32_e32 v22, v22
	v_cmp_ngt_f32_e32 vcc, s35, v17
	v_ldexp_f32 v22, v22, v112
	s_nop 0
	v_cndmask_b32_e32 v22, 0, v22, vcc
	v_cmp_nlt_f32_e32 vcc, s40, v17
	s_nop 1
	v_cndmask_b32_e32 v17, v108, v22, vcc
	v_add_f32_e32 v17, 1.0, v17
	v_rcp_f32_e32 v17, v17
	s_nop 0
	v_fma_f32 v17, v17, -2.0, 1.0
.LBB22_19:                              ;   in Loop: Header=BB22_17 Depth=1
	s_andn2_saveexec_b64 s[12:13], s[12:13]
; %bb.20:                               ;   in Loop: Header=BB22_17 Depth=1
	v_mul_f32_e32 v17, v16, v16
	v_fmamk_f32 v22, v17, 0xbbbac73d, v107
	v_fmaak_f32 v22, v17, v22, 0xbd5c1c4e
	v_fmaak_f32 v22, v17, v22, 0x3e088382
	v_fmaak_f32 v22, v17, v22, 0xbeaaaa99
	v_mul_f32_e64 v22, |v16|, v22
	v_fma_f32 v17, v17, v22, |v16|
; %bb.21:                               ;   in Loop: Header=BB22_17 Depth=1
	s_or_b64 exec, exec, s[12:13]
	v_bfi_b32 v16, s41, v17, v16
	v_mul_f32_e32 v22, s23, v16
	v_cndmask_b32_e64 v16, 0, 1, s[52:53]
	v_cmp_ne_u32_e64 s[12:13], 1, v16
	s_andn2_b64 vcc, exec, s[52:53]
	v_lshl_add_u64 v[16:17], v[54:55], 0, s[26:27]
	s_cbranch_vccnz .LBB22_23
; %bb.22:                               ;   in Loop: Header=BB22_17 Depth=1
	global_load_ushort v112, v[16:17], off
	s_waitcnt vmcnt(0)
	v_fma_mix_f32 v22, v97, v112, v22 op_sel_hi:[0,1,0]
.LBB22_23:                              ;   in Loop: Header=BB22_17 Depth=1
	v_mov_b32_e32 v112, 0
	v_dot4c_i32_i8_e32 v112, v110, v42
	v_mov_b32_e32 v110, 0
	v_dot4c_i32_i8_e32 v110, v111, v43
	v_mul_f32_e32 v91, v9, v91
	v_mul_f32_e32 v90, v8, v90
	v_mul_f32_e32 v19, v15, v19
	v_cvt_f32_i32_e32 v111, v110
	v_cvt_f32_i32_e32 v110, v112
	v_mul_f32_e32 v112, 0x3e000000, v91
	v_mul_f32_e32 v18, v14, v18
	v_pk_fma_f32 v[90:91], v[90:91], v[110:111], v[112:113] op_sel_hi:[0,1,0]
	v_add_f32_e32 v90, 0, v90
	v_add_f32_e32 v111, v90, v91
	v_mov_b32_e32 v90, 0
	v_dot4c_i32_i8_e32 v90, v31, v44
	v_mov_b32_e32 v31, 0
	v_dot4c_i32_i8_e32 v31, v109, v45
	v_mul_f32_e32 v110, v10, v29
	v_cvt_f32_i32_e32 v90, v90
	v_mul_f32_e32 v29, v11, v30
	v_cvt_f32_i32_e32 v91, v31
	v_mul_f32_e32 v30, 0x3e000000, v29
	v_pk_fma_f32 v[30:31], v[110:111], v[90:91], v[30:31] op_sel_hi:[0,1,0]
	v_add_f32_e32 v29, v111, v30
	v_mov_b32_e32 v30, 0
	v_dot4c_i32_i8_e32 v30, v27, v46
	v_mov_b32_e32 v27, 0
	v_dot4c_i32_i8_e32 v27, v28, v47
	v_add_f32_e32 v31, v29, v31
	v_cvt_f32_i32_e32 v28, v30
	v_mul_f32_e32 v30, v12, v25
	v_cvt_f32_i32_e32 v29, v27
	v_mul_f32_e32 v25, v13, v26
	v_mul_f32_e32 v26, 0x3e000000, v25
	v_pk_fma_f32 v[26:27], v[30:31], v[28:29], v[26:27] op_sel_hi:[0,1,0]
	v_add_f32_e32 v25, v31, v26
	v_mov_b32_e32 v26, 0
	v_dot4c_i32_i8_e32 v26, v23, v48
	v_mov_b32_e32 v23, 0
	v_dot4c_i32_i8_e32 v23, v24, v49
	v_add_f32_e32 v27, v25, v27
	v_cvt_f32_i32_e32 v24, v26
	v_mul_f32_e32 v26, 0x3e000000, v19
	v_cvt_f32_i32_e32 v25, v23
	v_pk_fma_f32 v[18:19], v[18:19], v[24:25], v[26:27] op_sel_hi:[0,1,0]
	v_add_f32_e32 v18, v27, v18
	v_add_f32_e32 v18, v18, v19
	ds_bpermute_b32 v19, v100, v18
	s_waitcnt lgkmcnt(0)
	v_add_f32_e32 v18, v18, v19
	ds_bpermute_b32 v19, v101, v18
	s_waitcnt lgkmcnt(0)
	v_add_f32_e32 v18, v18, v19
	v_cmp_nlt_f32_e64 s[14:15], |v18|, s2
                                        ; implicit-def: $vgpr19
	s_and_saveexec_b64 s[38:39], s[14:15]
	s_xor_b64 s[14:15], exec, s[38:39]
	s_cbranch_execz .LBB22_25
; %bb.24:                               ;   in Loop: Header=BB22_17 Depth=1
	v_add_f32_e64 v19, |v18|, |v18|
	v_mul_f32_e32 v23, 0x3fb8aa3b, v19
	v_rndne_f32_e32 v24, v23
	v_sub_f32_e32 v25, v23, v24
	v_fma_f32 v23, v19, s25, -v23
	v_fmac_f32_e32 v23, 0x32a5705f, v19
	v_add_f32_e32 v23, v25, v23
	v_cvt_i32_f32_e32 v24, v24
	v_exp_f32_e32 v23, v23
	v_cmp_ngt_f32_e32 vcc, s35, v19
	v_ldexp_f32 v23, v23, v24
	s_nop 0
	v_cndmask_b32_e32 v23, 0, v23, vcc
	v_cmp_nlt_f32_e32 vcc, s40, v19
	s_nop 1
	v_cndmask_b32_e32 v19, v108, v23, vcc
	v_add_f32_e32 v19, 1.0, v19
	v_rcp_f32_e32 v19, v19
	s_nop 0
	v_fma_f32 v19, v19, -2.0, 1.0
.LBB22_25:                              ;   in Loop: Header=BB22_17 Depth=1
	s_andn2_saveexec_b64 s[14:15], s[14:15]
; %bb.26:                               ;   in Loop: Header=BB22_17 Depth=1
	v_mul_f32_e32 v19, v18, v18
	v_fmamk_f32 v23, v19, 0xbbbac73d, v107
	v_fmaak_f32 v23, v19, v23, 0xbd5c1c4e
	v_fmaak_f32 v23, v19, v23, 0x3e088382
	;; [unrolled: 1-line block ×3, first 2 shown]
	v_mul_f32_e64 v23, |v18|, v23
	v_fma_f32 v19, v19, v23, |v18|
; %bb.27:                               ;   in Loop: Header=BB22_17 Depth=1
	s_or_b64 exec, exec, s[14:15]
	v_bfi_b32 v18, s41, v19, v18
	v_cndmask_b32_e64 v19, 0, 1, s[54:55]
	v_cmp_ne_u32_e64 s[14:15], 1, v19
	s_andn2_b64 vcc, exec, s[54:55]
	v_mul_f32_e32 v23, s23, v18
	s_cbranch_vccnz .LBB22_29
; %bb.28:                               ;   in Loop: Header=BB22_17 Depth=1
	v_lshl_add_u64 v[18:19], v[52:53], 0, s[26:27]
	global_load_ushort v18, v[18:19], off
	s_waitcnt vmcnt(0)
	v_fma_mix_f32 v23, v97, v18, v23 op_sel_hi:[0,1,0]
.LBB22_29:                              ;   in Loop: Header=BB22_17 Depth=1
	v_lshl_add_u64 v[24:25], v[64:65], 0, s[30:31]
	global_load_dword v26, v[24:25], off offset:4
	v_lshl_add_u64 v[18:19], v[68:69], 0, s[30:31]
	global_load_dword v27, v[18:19], off
	global_load_dword v28, v[18:19], off offset:40
	v_mov_b32_e32 v115, 0
	v_mov_b32_e32 v117, 0
	s_waitcnt vmcnt(2)
	v_and_b32_e32 v112, 0xf0f0f0f, v26
	v_lshrrev_b32_e32 v26, 4, v26
	v_and_b32_e32 v113, 0xf0f0f0f, v26
	global_load_dword v26, v[24:25], off offset:24
	s_waitcnt vmcnt(2)
	v_cvt_f32_f16_e32 v110, v27
	v_cvt_f32_f16_sdwa v111, v27 dst_sel:DWORD dst_unused:UNUSED_PAD src0_sel:WORD_1
	global_load_dword v27, v[18:19], off offset:20
	v_dot4c_i32_i8_e32 v115, v112, v34
	global_load_dword v19, v[18:19], off offset:60
	v_dot4c_i32_i8_e32 v117, v113, v35
	v_mul_f32_e32 v114, v1, v111
	v_cvt_f32_i32_e32 v116, v115
	v_mul_f32_e32 v114, 0x3e000000, v114
	v_cvt_f32_i32_e32 v117, v117
	s_waitcnt vmcnt(2)
	v_and_b32_e32 v91, 0xf0f0f0f, v26
	v_lshrrev_b32_e32 v26, 4, v26
	v_and_b32_e32 v109, 0xf0f0f0f, v26
	global_load_dword v26, v[24:25], off offset:44
	s_waitcnt vmcnt(2)
	v_cvt_f32_f16_sdwa v90, v27 dst_sel:DWORD dst_unused:UNUSED_PAD src0_sel:WORD_1
	global_load_dword v24, v[24:25], off offset:64
	v_cvt_f32_f16_e32 v31, v27
	v_cvt_f32_f16_e32 v27, v28
	v_cvt_f32_f16_sdwa v28, v28 dst_sel:DWORD dst_unused:UNUSED_PAD src0_sel:WORD_1
	s_waitcnt vmcnt(2)
	v_cvt_f32_f16_e32 v18, v19
	v_cvt_f32_f16_sdwa v19, v19 dst_sel:DWORD dst_unused:UNUSED_PAD src0_sel:WORD_1
	s_waitcnt vmcnt(1)
	v_and_b32_e32 v29, 0xf0f0f0f, v26
	v_lshrrev_b32_e32 v26, 4, v26
	s_waitcnt vmcnt(0)
	v_and_b32_e32 v25, 0xf0f0f0f, v24
	v_lshrrev_b32_e32 v24, 4, v24
	v_and_b32_e32 v30, 0xf0f0f0f, v26
	v_and_b32_e32 v26, 0xf0f0f0f, v24
	v_mul_f32_e32 v24, v0, v110
	v_pk_fma_f32 v[114:115], v[24:25], v[116:117], v[114:115] op_sel_hi:[0,1,0]
	v_add_f32_e32 v24, 0, v114
	v_add_f32_e32 v118, v24, v115
	v_mov_b32_e32 v115, 0
	v_mov_b32_e32 v117, 0
	v_dot4c_i32_i8_e32 v115, v91, v36
	v_dot4c_i32_i8_e32 v117, v109, v37
	v_mul_f32_e32 v114, v3, v90
	v_mul_f32_e32 v24, v2, v31
	v_cvt_f32_i32_e32 v116, v115
	v_cvt_f32_i32_e32 v117, v117
	v_mul_f32_e32 v114, 0x3e000000, v114
	v_pk_fma_f32 v[114:115], v[24:25], v[116:117], v[114:115] op_sel_hi:[0,1,0]
	v_add_f32_e32 v24, v118, v114
	v_add_f32_e32 v118, v24, v115
	v_mov_b32_e32 v115, 0
	v_mov_b32_e32 v117, 0
	v_dot4c_i32_i8_e32 v115, v29, v38
	v_dot4c_i32_i8_e32 v117, v30, v39
	v_mul_f32_e32 v114, v5, v28
	v_mul_f32_e32 v24, v4, v27
	v_cvt_f32_i32_e32 v116, v115
	v_cvt_f32_i32_e32 v117, v117
	;; [unrolled: 12-line block ×3, first 2 shown]
	v_mul_f32_e32 v114, 0x3e000000, v114
	v_pk_fma_f32 v[114:115], v[24:25], v[116:117], v[114:115] op_sel_hi:[0,1,0]
	v_add_f32_e32 v24, v118, v114
	v_add_f32_e32 v24, v24, v115
	ds_bpermute_b32 v114, v100, v24
	s_waitcnt lgkmcnt(0)
	v_add_f32_e32 v24, v24, v114
	ds_bpermute_b32 v114, v101, v24
	s_waitcnt lgkmcnt(0)
	v_add_f32_e32 v24, v24, v114
	v_cmp_nlt_f32_e64 s[38:39], |v24|, s2
                                        ; implicit-def: $vgpr114
	s_and_saveexec_b64 s[42:43], s[38:39]
	s_xor_b64 s[38:39], exec, s[42:43]
	s_cbranch_execz .LBB22_31
; %bb.30:                               ;   in Loop: Header=BB22_17 Depth=1
	v_add_f32_e64 v114, |v24|, |v24|
	v_mul_f32_e32 v115, 0x3fb8aa3b, v114
	v_rndne_f32_e32 v116, v115
	v_sub_f32_e32 v117, v115, v116
	v_fma_f32 v115, v114, s25, -v115
	v_fmac_f32_e32 v115, 0x32a5705f, v114
	v_add_f32_e32 v115, v117, v115
	v_cvt_i32_f32_e32 v116, v116
	v_exp_f32_e32 v115, v115
	v_cmp_ngt_f32_e32 vcc, s35, v114
	v_ldexp_f32 v115, v115, v116
	s_nop 0
	v_cndmask_b32_e32 v115, 0, v115, vcc
	v_cmp_nlt_f32_e32 vcc, s40, v114
	s_nop 1
	v_cndmask_b32_e32 v114, v108, v115, vcc
	v_add_f32_e32 v114, 1.0, v114
	v_rcp_f32_e32 v114, v114
	s_nop 0
	v_fma_f32 v114, v114, -2.0, 1.0
.LBB22_31:                              ;   in Loop: Header=BB22_17 Depth=1
	s_andn2_saveexec_b64 s[38:39], s[38:39]
; %bb.32:                               ;   in Loop: Header=BB22_17 Depth=1
	v_mul_f32_e32 v114, v24, v24
	v_fmamk_f32 v115, v114, 0xbbbac73d, v107
	v_fmaak_f32 v115, v114, v115, 0xbd5c1c4e
	v_fmaak_f32 v115, v114, v115, 0x3e088382
	;; [unrolled: 1-line block ×3, first 2 shown]
	v_mul_f32_e64 v115, |v24|, v115
	v_fma_f32 v114, v114, v115, |v24|
; %bb.33:                               ;   in Loop: Header=BB22_17 Depth=1
	s_or_b64 exec, exec, s[38:39]
	v_bfi_b32 v24, s41, v114, v24
	s_and_b64 vcc, exec, s[12:13]
	v_mul_f32_e32 v24, s23, v24
	s_cbranch_vccnz .LBB22_35
; %bb.34:                               ;   in Loop: Header=BB22_17 Depth=1
	global_load_ushort v114, v[16:17], off offset:2
	s_waitcnt vmcnt(0)
	v_fma_mix_f32 v24, v97, v114, v24 op_sel_hi:[0,1,0]
.LBB22_35:                              ;   in Loop: Header=BB22_17 Depth=1
	v_mov_b32_e32 v114, 0
	v_dot4c_i32_i8_e32 v114, v112, v42
	v_mov_b32_e32 v112, 0
	v_dot4c_i32_i8_e32 v112, v113, v43
	v_mul_f32_e32 v111, v9, v111
	v_mul_f32_e32 v110, v8, v110
	;; [unrolled: 1-line block ×3, first 2 shown]
	v_cvt_f32_i32_e32 v113, v112
	v_cvt_f32_i32_e32 v112, v114
	v_mul_f32_e32 v114, 0x3e000000, v111
	v_mul_f32_e32 v18, v14, v18
	v_pk_fma_f32 v[110:111], v[110:111], v[112:113], v[114:115] op_sel_hi:[0,1,0]
	v_add_f32_e32 v110, 0, v110
	v_add_f32_e32 v113, v110, v111
	v_mov_b32_e32 v110, 0
	v_dot4c_i32_i8_e32 v110, v91, v44
	v_mov_b32_e32 v91, 0
	v_dot4c_i32_i8_e32 v91, v109, v45
	v_mul_f32_e32 v112, v10, v31
	v_cvt_f32_i32_e32 v110, v110
	v_mul_f32_e32 v31, v11, v90
	v_cvt_f32_i32_e32 v111, v91
	v_mul_f32_e32 v90, 0x3e000000, v31
	v_pk_fma_f32 v[90:91], v[112:113], v[110:111], v[90:91] op_sel_hi:[0,1,0]
	v_add_f32_e32 v31, v113, v90
	v_mov_b32_e32 v90, 0
	v_dot4c_i32_i8_e32 v90, v29, v46
	v_mov_b32_e32 v29, 0
	v_dot4c_i32_i8_e32 v29, v30, v47
	v_add_f32_e32 v91, v31, v91
	v_cvt_f32_i32_e32 v30, v90
	v_mul_f32_e32 v90, v12, v27
	v_cvt_f32_i32_e32 v31, v29
	v_mul_f32_e32 v27, v13, v28
	v_mul_f32_e32 v28, 0x3e000000, v27
	v_pk_fma_f32 v[28:29], v[90:91], v[30:31], v[28:29] op_sel_hi:[0,1,0]
	v_add_f32_e32 v27, v91, v28
	v_mov_b32_e32 v28, 0
	v_dot4c_i32_i8_e32 v28, v25, v48
	v_mov_b32_e32 v25, 0
	v_dot4c_i32_i8_e32 v25, v26, v49
	v_add_f32_e32 v29, v27, v29
	v_cvt_f32_i32_e32 v26, v28
	v_mul_f32_e32 v28, 0x3e000000, v19
	v_cvt_f32_i32_e32 v27, v25
	v_pk_fma_f32 v[18:19], v[18:19], v[26:27], v[28:29] op_sel_hi:[0,1,0]
	v_add_f32_e32 v18, v29, v18
	v_add_f32_e32 v18, v18, v19
	ds_bpermute_b32 v19, v100, v18
	s_waitcnt lgkmcnt(0)
	v_add_f32_e32 v18, v18, v19
	ds_bpermute_b32 v19, v101, v18
	s_waitcnt lgkmcnt(0)
	v_add_f32_e32 v18, v18, v19
	v_cmp_nlt_f32_e64 s[38:39], |v18|, s2
                                        ; implicit-def: $vgpr19
	s_and_saveexec_b64 s[42:43], s[38:39]
	s_xor_b64 s[38:39], exec, s[42:43]
	s_cbranch_execz .LBB22_37
; %bb.36:                               ;   in Loop: Header=BB22_17 Depth=1
	v_add_f32_e64 v19, |v18|, |v18|
	v_mul_f32_e32 v25, 0x3fb8aa3b, v19
	v_rndne_f32_e32 v26, v25
	v_sub_f32_e32 v27, v25, v26
	v_fma_f32 v25, v19, s25, -v25
	v_fmac_f32_e32 v25, 0x32a5705f, v19
	v_add_f32_e32 v25, v27, v25
	v_cvt_i32_f32_e32 v26, v26
	v_exp_f32_e32 v25, v25
	v_cmp_ngt_f32_e32 vcc, s35, v19
	v_ldexp_f32 v25, v25, v26
	s_nop 0
	v_cndmask_b32_e32 v25, 0, v25, vcc
	v_cmp_nlt_f32_e32 vcc, s40, v19
	s_nop 1
	v_cndmask_b32_e32 v19, v108, v25, vcc
	v_add_f32_e32 v19, 1.0, v19
	v_rcp_f32_e32 v19, v19
	s_nop 0
	v_fma_f32 v19, v19, -2.0, 1.0
.LBB22_37:                              ;   in Loop: Header=BB22_17 Depth=1
	s_andn2_saveexec_b64 s[38:39], s[38:39]
; %bb.38:                               ;   in Loop: Header=BB22_17 Depth=1
	v_mul_f32_e32 v19, v18, v18
	v_fmamk_f32 v25, v19, 0xbbbac73d, v107
	v_fmaak_f32 v25, v19, v25, 0xbd5c1c4e
	v_fmaak_f32 v25, v19, v25, 0x3e088382
	;; [unrolled: 1-line block ×3, first 2 shown]
	v_mul_f32_e64 v25, |v18|, v25
	v_fma_f32 v19, v19, v25, |v18|
; %bb.39:                               ;   in Loop: Header=BB22_17 Depth=1
	s_or_b64 exec, exec, s[38:39]
	v_bfi_b32 v18, s41, v19, v18
	v_mul_f32_e32 v25, s23, v18
	s_and_b64 vcc, exec, s[14:15]
	v_lshl_add_u64 v[18:19], v[60:61], 0, s[26:27]
	s_cbranch_vccnz .LBB22_41
; %bb.40:                               ;   in Loop: Header=BB22_17 Depth=1
	global_load_ushort v26, v[18:19], off offset:2
	s_waitcnt vmcnt(0)
	v_fma_mix_f32 v25, v97, v26, v25 op_sel_hi:[0,1,0]
.LBB22_41:                              ;   in Loop: Header=BB22_17 Depth=1
	v_lshl_add_u64 v[28:29], v[58:59], 0, s[30:31]
	global_load_dword v30, v[28:29], off offset:4
	v_lshl_add_u64 v[26:27], v[62:63], 0, s[30:31]
	global_load_dword v31, v[26:27], off
	global_load_dword v90, v[26:27], off offset:40
	v_mov_b32_e32 v119, 0
	v_mov_b32_e32 v121, 0
	s_waitcnt vmcnt(2)
	v_and_b32_e32 v116, 0xf0f0f0f, v30
	v_lshrrev_b32_e32 v30, 4, v30
	v_and_b32_e32 v117, 0xf0f0f0f, v30
	global_load_dword v30, v[28:29], off offset:24
	s_waitcnt vmcnt(2)
	v_cvt_f32_f16_e32 v114, v31
	v_cvt_f32_f16_sdwa v115, v31 dst_sel:DWORD dst_unused:UNUSED_PAD src0_sel:WORD_1
	global_load_dword v31, v[26:27], off offset:20
	v_dot4c_i32_i8_e32 v119, v116, v34
	global_load_dword v26, v[26:27], off offset:60
	v_dot4c_i32_i8_e32 v121, v117, v35
	v_mul_f32_e32 v118, v1, v115
	v_cvt_f32_i32_e32 v120, v119
	v_mul_f32_e32 v118, 0x3e000000, v118
	v_cvt_f32_i32_e32 v121, v121
	s_waitcnt vmcnt(2)
	v_and_b32_e32 v112, 0xf0f0f0f, v30
	v_lshrrev_b32_e32 v30, 4, v30
	v_and_b32_e32 v113, 0xf0f0f0f, v30
	global_load_dword v30, v[28:29], off offset:44
	s_waitcnt vmcnt(2)
	v_cvt_f32_f16_sdwa v111, v31 dst_sel:DWORD dst_unused:UNUSED_PAD src0_sel:WORD_1
	s_waitcnt vmcnt(1)
	v_cvt_f32_f16_e32 v27, v26
	v_cvt_f32_f16_e32 v110, v31
	;; [unrolled: 1-line block ×3, first 2 shown]
	v_cvt_f32_f16_sdwa v90, v90 dst_sel:DWORD dst_unused:UNUSED_PAD src0_sel:WORD_1
	s_waitcnt vmcnt(0)
	v_and_b32_e32 v91, 0xf0f0f0f, v30
	v_lshrrev_b32_e32 v30, 4, v30
	v_and_b32_e32 v109, 0xf0f0f0f, v30
	global_load_dword v30, v[28:29], off offset:64
	v_cvt_f32_f16_sdwa v28, v26 dst_sel:DWORD dst_unused:UNUSED_PAD src0_sel:WORD_1
	s_waitcnt vmcnt(0)
	v_lshrrev_b32_e32 v26, 4, v30
	v_and_b32_e32 v29, 0xf0f0f0f, v30
	v_and_b32_e32 v30, 0xf0f0f0f, v26
	v_mul_f32_e32 v26, v0, v114
	v_pk_fma_f32 v[118:119], v[26:27], v[120:121], v[118:119] op_sel_hi:[0,1,0]
	v_add_f32_e32 v26, 0, v118
	v_add_f32_e32 v122, v26, v119
	v_mov_b32_e32 v119, 0
	v_mov_b32_e32 v121, 0
	v_dot4c_i32_i8_e32 v119, v112, v36
	v_dot4c_i32_i8_e32 v121, v113, v37
	v_mul_f32_e32 v118, v3, v111
	v_mul_f32_e32 v26, v2, v110
	v_cvt_f32_i32_e32 v120, v119
	v_cvt_f32_i32_e32 v121, v121
	v_mul_f32_e32 v118, 0x3e000000, v118
	v_pk_fma_f32 v[118:119], v[26:27], v[120:121], v[118:119] op_sel_hi:[0,1,0]
	v_add_f32_e32 v26, v122, v118
	v_add_f32_e32 v122, v26, v119
	v_mov_b32_e32 v119, 0
	v_mov_b32_e32 v121, 0
	v_dot4c_i32_i8_e32 v119, v91, v38
	v_dot4c_i32_i8_e32 v121, v109, v39
	v_mul_f32_e32 v118, v5, v90
	v_mul_f32_e32 v26, v4, v31
	v_cvt_f32_i32_e32 v120, v119
	v_cvt_f32_i32_e32 v121, v121
	;; [unrolled: 12-line block ×3, first 2 shown]
	v_mul_f32_e32 v118, 0x3e000000, v118
	v_pk_fma_f32 v[118:119], v[26:27], v[120:121], v[118:119] op_sel_hi:[0,1,0]
	v_add_f32_e32 v26, v122, v118
	v_add_f32_e32 v26, v26, v119
	ds_bpermute_b32 v118, v100, v26
	s_waitcnt lgkmcnt(0)
	v_add_f32_e32 v26, v26, v118
	ds_bpermute_b32 v118, v101, v26
	s_waitcnt lgkmcnt(0)
	v_add_f32_e32 v26, v26, v118
	v_cmp_nlt_f32_e64 s[38:39], |v26|, s2
                                        ; implicit-def: $vgpr118
	s_and_saveexec_b64 s[42:43], s[38:39]
	s_xor_b64 s[38:39], exec, s[42:43]
	s_cbranch_execz .LBB22_43
; %bb.42:                               ;   in Loop: Header=BB22_17 Depth=1
	v_add_f32_e64 v118, |v26|, |v26|
	v_mul_f32_e32 v119, 0x3fb8aa3b, v118
	v_rndne_f32_e32 v120, v119
	v_sub_f32_e32 v121, v119, v120
	v_fma_f32 v119, v118, s25, -v119
	v_fmac_f32_e32 v119, 0x32a5705f, v118
	v_add_f32_e32 v119, v121, v119
	v_cvt_i32_f32_e32 v120, v120
	v_exp_f32_e32 v119, v119
	v_cmp_ngt_f32_e32 vcc, s35, v118
	v_ldexp_f32 v119, v119, v120
	s_nop 0
	v_cndmask_b32_e32 v119, 0, v119, vcc
	v_cmp_nlt_f32_e32 vcc, s40, v118
	s_nop 1
	v_cndmask_b32_e32 v118, v108, v119, vcc
	v_add_f32_e32 v118, 1.0, v118
	v_rcp_f32_e32 v118, v118
	s_nop 0
	v_fma_f32 v118, v118, -2.0, 1.0
.LBB22_43:                              ;   in Loop: Header=BB22_17 Depth=1
	s_andn2_saveexec_b64 s[38:39], s[38:39]
; %bb.44:                               ;   in Loop: Header=BB22_17 Depth=1
	v_mul_f32_e32 v118, v26, v26
	v_fmamk_f32 v119, v118, 0xbbbac73d, v107
	v_fmaak_f32 v119, v118, v119, 0xbd5c1c4e
	v_fmaak_f32 v119, v118, v119, 0x3e088382
	;; [unrolled: 1-line block ×3, first 2 shown]
	v_mul_f32_e64 v119, |v26|, v119
	v_fma_f32 v118, v118, v119, |v26|
; %bb.45:                               ;   in Loop: Header=BB22_17 Depth=1
	s_or_b64 exec, exec, s[38:39]
	v_bfi_b32 v26, s41, v118, v26
	s_and_b64 vcc, exec, s[12:13]
	v_mul_f32_e32 v26, s23, v26
	s_cbranch_vccnz .LBB22_47
; %bb.46:                               ;   in Loop: Header=BB22_17 Depth=1
	global_load_ushort v118, v[16:17], off offset:4
	s_waitcnt vmcnt(0)
	v_fma_mix_f32 v26, v97, v118, v26 op_sel_hi:[0,1,0]
.LBB22_47:                              ;   in Loop: Header=BB22_17 Depth=1
	v_mov_b32_e32 v118, 0
	v_dot4c_i32_i8_e32 v118, v116, v42
	v_mov_b32_e32 v116, 0
	v_dot4c_i32_i8_e32 v116, v117, v43
	v_mul_f32_e32 v115, v9, v115
	v_mul_f32_e32 v114, v8, v114
	;; [unrolled: 1-line block ×3, first 2 shown]
	v_cvt_f32_i32_e32 v117, v116
	v_cvt_f32_i32_e32 v116, v118
	v_mul_f32_e32 v118, 0x3e000000, v115
	v_mul_f32_e32 v110, v10, v110
	v_pk_fma_f32 v[114:115], v[114:115], v[116:117], v[118:119] op_sel_hi:[0,1,0]
	v_add_f32_e32 v114, 0, v114
	v_add_f32_e32 v115, v114, v115
	v_mov_b32_e32 v114, 0
	v_dot4c_i32_i8_e32 v114, v112, v44
	v_mov_b32_e32 v112, 0
	v_dot4c_i32_i8_e32 v112, v113, v45
	s_nop 2
	v_cvt_f32_i32_e32 v113, v112
	v_cvt_f32_i32_e32 v112, v114
	v_mul_f32_e32 v114, 0x3e000000, v111
	v_pk_fma_f32 v[110:111], v[110:111], v[112:113], v[114:115] op_sel_hi:[0,1,0]
	v_add_f32_e32 v110, v115, v110
	v_add_f32_e32 v113, v110, v111
	v_mov_b32_e32 v110, 0
	v_dot4c_i32_i8_e32 v110, v91, v46
	v_mov_b32_e32 v91, 0
	v_dot4c_i32_i8_e32 v91, v109, v47
	v_mul_f32_e32 v112, v12, v31
	v_cvt_f32_i32_e32 v110, v110
	v_mul_f32_e32 v31, v13, v90
	v_cvt_f32_i32_e32 v111, v91
	v_mul_f32_e32 v90, 0x3e000000, v31
	v_pk_fma_f32 v[90:91], v[112:113], v[110:111], v[90:91] op_sel_hi:[0,1,0]
	v_add_f32_e32 v31, v113, v90
	v_mov_b32_e32 v90, 0
	v_dot4c_i32_i8_e32 v90, v29, v48
	v_mov_b32_e32 v29, 0
	v_dot4c_i32_i8_e32 v29, v30, v49
	v_add_f32_e32 v91, v31, v91
	v_cvt_f32_i32_e32 v30, v90
	v_mul_f32_e32 v90, v14, v27
	v_cvt_f32_i32_e32 v31, v29
	v_mul_f32_e32 v27, v15, v28
	v_mul_f32_e32 v28, 0x3e000000, v27
	v_pk_fma_f32 v[28:29], v[90:91], v[30:31], v[28:29] op_sel_hi:[0,1,0]
	v_add_f32_e32 v27, v91, v28
	v_add_f32_e32 v27, v27, v29
	ds_bpermute_b32 v28, v100, v27
	s_waitcnt lgkmcnt(0)
	v_add_f32_e32 v27, v27, v28
	ds_bpermute_b32 v28, v101, v27
	s_waitcnt lgkmcnt(0)
	v_add_f32_e32 v27, v27, v28
	v_cmp_nlt_f32_e64 s[38:39], |v27|, s2
                                        ; implicit-def: $vgpr28
	s_and_saveexec_b64 s[42:43], s[38:39]
	s_xor_b64 s[38:39], exec, s[42:43]
	s_cbranch_execz .LBB22_49
; %bb.48:                               ;   in Loop: Header=BB22_17 Depth=1
	v_add_f32_e64 v28, |v27|, |v27|
	v_mul_f32_e32 v29, 0x3fb8aa3b, v28
	v_rndne_f32_e32 v30, v29
	v_sub_f32_e32 v31, v29, v30
	v_fma_f32 v29, v28, s25, -v29
	v_fmac_f32_e32 v29, 0x32a5705f, v28
	v_add_f32_e32 v29, v31, v29
	v_cvt_i32_f32_e32 v30, v30
	v_exp_f32_e32 v29, v29
	v_cmp_ngt_f32_e32 vcc, s35, v28
	v_ldexp_f32 v29, v29, v30
	s_nop 0
	v_cndmask_b32_e32 v29, 0, v29, vcc
	v_cmp_nlt_f32_e32 vcc, s40, v28
	s_nop 1
	v_cndmask_b32_e32 v28, v108, v29, vcc
	v_add_f32_e32 v28, 1.0, v28
	v_rcp_f32_e32 v28, v28
	s_nop 0
	v_fma_f32 v28, v28, -2.0, 1.0
.LBB22_49:                              ;   in Loop: Header=BB22_17 Depth=1
	s_andn2_saveexec_b64 s[38:39], s[38:39]
; %bb.50:                               ;   in Loop: Header=BB22_17 Depth=1
	v_mul_f32_e32 v28, v27, v27
	v_fmamk_f32 v29, v28, 0xbbbac73d, v107
	v_fmaak_f32 v29, v28, v29, 0xbd5c1c4e
	v_fmaak_f32 v29, v28, v29, 0x3e088382
	;; [unrolled: 1-line block ×3, first 2 shown]
	v_mul_f32_e64 v29, |v27|, v29
	v_fma_f32 v28, v28, v29, |v27|
; %bb.51:                               ;   in Loop: Header=BB22_17 Depth=1
	s_or_b64 exec, exec, s[38:39]
	v_bfi_b32 v27, s41, v28, v27
	s_and_b64 vcc, exec, s[14:15]
	v_mul_f32_e32 v27, s23, v27
	s_cbranch_vccnz .LBB22_53
; %bb.52:                               ;   in Loop: Header=BB22_17 Depth=1
	global_load_ushort v28, v[18:19], off offset:4
	s_waitcnt vmcnt(0)
	v_fma_mix_f32 v27, v97, v28, v27 op_sel_hi:[0,1,0]
.LBB22_53:                              ;   in Loop: Header=BB22_17 Depth=1
	v_lshl_add_u64 v[28:29], v[56:57], 0, s[30:31]
	global_load_dword v91, v[28:29], off
	v_lshl_add_u64 v[30:31], v[50:51], 0, s[30:31]
	global_load_dword v90, v[30:31], off offset:4
	global_load_dword v110, v[30:31], off offset:44
	v_mov_b32_e32 v119, 0
	s_waitcnt vmcnt(2)
	v_cvt_f32_f16_e32 v115, v91
	v_cvt_f32_f16_sdwa v116, v91 dst_sel:DWORD dst_unused:UNUSED_PAD src0_sel:WORD_1
	global_load_dword v91, v[28:29], off offset:20
	s_waitcnt vmcnt(2)
	v_and_b32_e32 v117, 0xf0f0f0f, v90
	v_lshrrev_b32_e32 v90, 4, v90
	v_and_b32_e32 v118, 0xf0f0f0f, v90
	global_load_dword v90, v[30:31], off offset:24
	v_mul_f32_e32 v121, v1, v116
	global_load_dword v31, v[30:31], off offset:64
	v_mul_f32_e32 v122, 0x3e000000, v121
	v_mov_b32_e32 v121, 0
	v_dot4c_i32_i8_e32 v119, v117, v34
	v_dot4c_i32_i8_e32 v121, v118, v35
	v_mul_f32_e32 v120, v0, v115
	s_waitcnt vmcnt(3)
	v_and_b32_e32 v109, 0xf0f0f0f, v110
	v_cvt_f32_i32_e32 v124, v119
	v_cvt_f32_i32_e32 v125, v121
	v_lshrrev_b32_e32 v110, 4, v110
	v_and_b32_e32 v110, 0xf0f0f0f, v110
	v_pk_fma_f32 v[120:121], v[120:121], v[124:125], v[122:123] op_sel_hi:[0,1,0]
	v_add_f32_e32 v119, 0, v120
	v_add_f32_e32 v119, v119, v121
	v_mov_b32_e32 v121, 0
	v_mov_b32_e32 v123, 0
	s_waitcnt vmcnt(2)
	v_cvt_f32_f16_e32 v111, v91
	v_cvt_f32_f16_sdwa v112, v91 dst_sel:DWORD dst_unused:UNUSED_PAD src0_sel:WORD_1
	global_load_dword v91, v[28:29], off offset:40
	s_waitcnt vmcnt(2)
	v_and_b32_e32 v113, 0xf0f0f0f, v90
	global_load_dword v29, v[28:29], off offset:60
	v_lshrrev_b32_e32 v90, 4, v90
	v_and_b32_e32 v114, 0xf0f0f0f, v90
	v_dot4c_i32_i8_e32 v121, v113, v36
	v_dot4c_i32_i8_e32 v123, v114, v37
	v_mul_f32_e32 v122, v3, v112
	v_mul_f32_e32 v120, v2, v111
	v_cvt_f32_i32_e32 v124, v121
	v_cvt_f32_i32_e32 v125, v123
	v_mul_f32_e32 v122, 0x3e000000, v122
	s_waitcnt vmcnt(2)
	v_and_b32_e32 v30, 0xf0f0f0f, v31
	v_lshrrev_b32_e32 v31, 4, v31
	v_pk_fma_f32 v[120:121], v[120:121], v[124:125], v[122:123] op_sel_hi:[0,1,0]
	v_add_f32_e32 v119, v119, v120
	v_add_f32_e32 v119, v119, v121
	v_mov_b32_e32 v121, 0
	v_mov_b32_e32 v123, 0
	v_dot4c_i32_i8_e32 v121, v109, v38
	v_dot4c_i32_i8_e32 v123, v110, v39
	v_and_b32_e32 v31, 0xf0f0f0f, v31
	s_waitcnt vmcnt(1)
	v_cvt_f32_f16_e32 v90, v91
	v_cvt_f32_f16_sdwa v91, v91 dst_sel:DWORD dst_unused:UNUSED_PAD src0_sel:WORD_1
	v_cvt_f32_i32_e32 v124, v121
	v_cvt_f32_i32_e32 v125, v123
	v_mul_f32_e32 v120, v4, v90
	v_mul_f32_e32 v122, v5, v91
	;; [unrolled: 1-line block ×3, first 2 shown]
	v_pk_fma_f32 v[120:121], v[120:121], v[124:125], v[122:123] op_sel_hi:[0,1,0]
	v_add_f32_e32 v119, v119, v120
	s_waitcnt vmcnt(0)
	v_cvt_f32_f16_e32 v28, v29
	v_cvt_f32_f16_sdwa v29, v29 dst_sel:DWORD dst_unused:UNUSED_PAD src0_sel:WORD_1
	v_add_f32_e32 v119, v119, v121
	v_mov_b32_e32 v121, 0
	v_mov_b32_e32 v123, 0
	v_dot4c_i32_i8_e32 v121, v30, v40
	v_dot4c_i32_i8_e32 v123, v31, v41
	v_mul_f32_e32 v122, v7, v29
	v_mul_f32_e32 v120, v6, v28
	v_cvt_f32_i32_e32 v124, v121
	v_cvt_f32_i32_e32 v125, v123
	v_mul_f32_e32 v122, 0x3e000000, v122
	v_pk_fma_f32 v[120:121], v[120:121], v[124:125], v[122:123] op_sel_hi:[0,1,0]
	v_add_f32_e32 v119, v119, v120
	v_add_f32_e32 v119, v119, v121
	ds_bpermute_b32 v120, v100, v119
	s_waitcnt lgkmcnt(0)
	v_add_f32_e32 v119, v119, v120
	ds_bpermute_b32 v120, v101, v119
	s_waitcnt lgkmcnt(0)
	v_add_f32_e32 v119, v119, v120
	v_cmp_nlt_f32_e64 s[38:39], |v119|, s2
                                        ; implicit-def: $vgpr120
	s_and_saveexec_b64 s[42:43], s[38:39]
	s_xor_b64 s[38:39], exec, s[42:43]
	s_cbranch_execz .LBB22_55
; %bb.54:                               ;   in Loop: Header=BB22_17 Depth=1
	v_add_f32_e64 v120, |v119|, |v119|
	v_mul_f32_e32 v121, 0x3fb8aa3b, v120
	v_rndne_f32_e32 v122, v121
	v_sub_f32_e32 v123, v121, v122
	v_fma_f32 v121, v120, s25, -v121
	v_fmac_f32_e32 v121, 0x32a5705f, v120
	v_add_f32_e32 v121, v123, v121
	v_cvt_i32_f32_e32 v122, v122
	v_exp_f32_e32 v121, v121
	v_cmp_ngt_f32_e32 vcc, s35, v120
	v_ldexp_f32 v121, v121, v122
	s_nop 0
	v_cndmask_b32_e32 v121, 0, v121, vcc
	v_cmp_nlt_f32_e32 vcc, s40, v120
	s_nop 1
	v_cndmask_b32_e32 v120, v108, v121, vcc
	v_add_f32_e32 v120, 1.0, v120
	v_rcp_f32_e32 v120, v120
	s_nop 0
	v_fma_f32 v120, v120, -2.0, 1.0
.LBB22_55:                              ;   in Loop: Header=BB22_17 Depth=1
	s_andn2_saveexec_b64 s[38:39], s[38:39]
; %bb.56:                               ;   in Loop: Header=BB22_17 Depth=1
	v_mul_f32_e32 v120, v119, v119
	v_fmamk_f32 v121, v120, 0xbbbac73d, v107
	v_fmaak_f32 v121, v120, v121, 0xbd5c1c4e
	v_fmaak_f32 v121, v120, v121, 0x3e088382
	;; [unrolled: 1-line block ×3, first 2 shown]
	v_mul_f32_e64 v121, |v119|, v121
	v_fma_f32 v120, v120, v121, |v119|
; %bb.57:                               ;   in Loop: Header=BB22_17 Depth=1
	s_or_b64 exec, exec, s[38:39]
	v_bfi_b32 v119, s41, v120, v119
	s_and_b64 vcc, exec, s[12:13]
	v_mul_f32_e32 v119, s23, v119
	s_cbranch_vccnz .LBB22_59
; %bb.58:                               ;   in Loop: Header=BB22_17 Depth=1
	global_load_ushort v16, v[16:17], off offset:6
	s_waitcnt vmcnt(0)
	v_fma_mix_f32 v119, v97, v16, v119 op_sel_hi:[0,1,0]
.LBB22_59:                              ;   in Loop: Header=BB22_17 Depth=1
	v_mov_b32_e32 v16, 0
	v_mov_b32_e32 v17, 0
	v_dot4c_i32_i8_e32 v16, v117, v42
	v_dot4c_i32_i8_e32 v17, v118, v43
	v_mul_f32_e32 v118, v8, v115
	v_mul_f32_e32 v115, v9, v116
	v_cvt_f32_i32_e32 v16, v16
	v_cvt_f32_i32_e32 v17, v17
	v_mul_f32_e32 v116, 0x3e000000, v115
	v_mul_f32_e32 v91, v13, v91
	;; [unrolled: 1-line block ×3, first 2 shown]
	v_pk_fma_f32 v[16:17], v[118:119], v[16:17], v[116:117] op_sel_hi:[0,1,0]
	v_add_f32_e32 v16, 0, v16
	v_add_f32_e32 v115, v16, v17
	v_mov_b32_e32 v16, 0
	v_mov_b32_e32 v17, 0
	v_dot4c_i32_i8_e32 v16, v113, v44
	v_dot4c_i32_i8_e32 v17, v114, v45
	v_mul_f32_e32 v114, v10, v111
	v_mul_f32_e32 v111, v11, v112
	v_cvt_f32_i32_e32 v16, v16
	v_cvt_f32_i32_e32 v17, v17
	v_mul_f32_e32 v112, 0x3e000000, v111
	v_mul_f32_e32 v29, v15, v29
	;; [unrolled: 1-line block ×3, first 2 shown]
	v_pk_fma_f32 v[16:17], v[114:115], v[16:17], v[112:113] op_sel_hi:[0,1,0]
	v_add_f32_e32 v16, v115, v16
	v_add_f32_e32 v111, v16, v17
	v_mov_b32_e32 v16, 0
	v_mov_b32_e32 v17, 0
	v_dot4c_i32_i8_e32 v16, v109, v46
	v_dot4c_i32_i8_e32 v17, v110, v47
	v_mul_f32_e32 v110, 0x3e000000, v91
	s_nop 0
	v_cvt_f32_i32_e32 v16, v16
	v_cvt_f32_i32_e32 v17, v17
	v_pk_fma_f32 v[16:17], v[90:91], v[16:17], v[110:111] op_sel_hi:[0,1,0]
	v_add_f32_e32 v16, v111, v16
	v_add_f32_e32 v90, v16, v17
	v_mov_b32_e32 v16, 0
	v_mov_b32_e32 v17, 0
	v_dot4c_i32_i8_e32 v16, v30, v48
	v_dot4c_i32_i8_e32 v17, v31, v49
	v_mul_f32_e32 v30, 0x3e000000, v29
	s_nop 0
	v_cvt_f32_i32_e32 v16, v16
	v_cvt_f32_i32_e32 v17, v17
	v_pk_fma_f32 v[16:17], v[28:29], v[16:17], v[30:31] op_sel_hi:[0,1,0]
	v_add_f32_e32 v16, v90, v16
	v_add_f32_e32 v16, v16, v17
	ds_bpermute_b32 v17, v100, v16
	s_waitcnt lgkmcnt(0)
	v_add_f32_e32 v16, v16, v17
	ds_bpermute_b32 v17, v101, v16
	s_waitcnt lgkmcnt(0)
	v_add_f32_e32 v16, v16, v17
	v_cmp_nlt_f32_e64 s[12:13], |v16|, s2
                                        ; implicit-def: $vgpr17
	s_and_saveexec_b64 s[38:39], s[12:13]
	s_xor_b64 s[12:13], exec, s[38:39]
	s_cbranch_execz .LBB22_61
; %bb.60:                               ;   in Loop: Header=BB22_17 Depth=1
	v_add_f32_e64 v17, |v16|, |v16|
	v_mul_f32_e32 v28, 0x3fb8aa3b, v17
	v_rndne_f32_e32 v29, v28
	v_sub_f32_e32 v30, v28, v29
	v_fma_f32 v28, v17, s25, -v28
	v_fmac_f32_e32 v28, 0x32a5705f, v17
	v_add_f32_e32 v28, v30, v28
	v_cvt_i32_f32_e32 v29, v29
	v_exp_f32_e32 v28, v28
	v_cmp_ngt_f32_e32 vcc, s35, v17
	v_ldexp_f32 v28, v28, v29
	s_nop 0
	v_cndmask_b32_e32 v28, 0, v28, vcc
	v_cmp_nlt_f32_e32 vcc, s40, v17
	s_nop 1
	v_cndmask_b32_e32 v17, v108, v28, vcc
	v_add_f32_e32 v17, 1.0, v17
	v_rcp_f32_e32 v17, v17
	s_nop 0
	v_fma_f32 v17, v17, -2.0, 1.0
.LBB22_61:                              ;   in Loop: Header=BB22_17 Depth=1
	s_andn2_saveexec_b64 s[12:13], s[12:13]
; %bb.62:                               ;   in Loop: Header=BB22_17 Depth=1
	v_mul_f32_e32 v17, v16, v16
	v_fmamk_f32 v28, v17, 0xbbbac73d, v107
	v_fmaak_f32 v28, v17, v28, 0xbd5c1c4e
	v_fmaak_f32 v28, v17, v28, 0x3e088382
	v_fmaak_f32 v28, v17, v28, 0xbeaaaa99
	v_mul_f32_e64 v28, |v16|, v28
	v_fma_f32 v17, v17, v28, |v16|
; %bb.63:                               ;   in Loop: Header=BB22_17 Depth=1
	s_or_b64 exec, exec, s[12:13]
	v_bfi_b32 v16, s41, v17, v16
	s_and_b64 vcc, exec, s[14:15]
	v_mul_f32_e32 v16, s23, v16
	s_cbranch_vccnz .LBB22_65
; %bb.64:                               ;   in Loop: Header=BB22_17 Depth=1
	global_load_ushort v17, v[18:19], off offset:6
	s_waitcnt vmcnt(0)
	v_fma_mix_f32 v16, v97, v17, v16 op_sel_hi:[0,1,0]
.LBB22_65:                              ;   in Loop: Header=BB22_17 Depth=1
	v_cndmask_b32_e64 v17, v88, v22, s[4:5]
	v_add_f32_e32 v19, 0x40051340, v22
	v_add_f32_e32 v22, 0x40051340, v24
	v_cndmask_b32_e64 v18, v89, v23, s[4:5]
	v_cndmask_b32_e64 v17, v17, v24, s[6:7]
	v_max3_f32 v19, v21, v19, v22
	v_add_f32_e32 v22, 0x40051340, v26
	v_add_f32_e32 v24, 0x40051340, v119
	v_cndmask_b32_e64 v18, v18, v25, s[6:7]
	v_max3_f32 v19, v19, v22, v24
	v_add_f32_e32 v22, 0x40051340, v23
	v_add_f32_e32 v23, 0x40051340, v25
	v_cndmask_b32_e64 v17, v17, v26, s[8:9]
	v_cndmask_b32_e64 v18, v18, v27, s[8:9]
	v_max3_f32 v22, v20, v22, v23
	v_add_f32_e32 v23, 0x40051340, v27
	v_add_f32_e32 v24, 0x40051340, v16
	v_max3_f32 v23, v22, v23, v24
	v_cndmask_b32_e64 v24, v18, v16, s[10:11]
	v_cndmask_b32_e64 v16, v17, v119, s[10:11]
	ds_bpermute_b32 v17, v102, v19
	s_add_i32 s24, s24, s34
	v_lshl_add_u64 v[50:51], v[50:51], 0, s[36:37]
	v_lshl_add_u64 v[52:53], v[52:53], 0, s[56:57]
	;; [unrolled: 1-line block ×3, first 2 shown]
	s_waitcnt lgkmcnt(0)
	v_max_f32_e32 v17, v17, v17
	v_max_f32_e32 v17, v19, v17
	ds_bpermute_b32 v18, v103, v17
	v_lshl_add_u64 v[56:57], v[56:57], 0, s[36:37]
	v_lshl_add_u64 v[58:59], v[58:59], 0, s[36:37]
	;; [unrolled: 1-line block ×4, first 2 shown]
	s_waitcnt lgkmcnt(0)
	v_max_f32_e32 v18, v18, v18
	v_max_f32_e32 v17, v17, v18
	ds_bpermute_b32 v18, v104, v17
	v_lshl_add_u64 v[64:65], v[64:65], 0, s[36:37]
	v_lshl_add_u64 v[68:69], v[68:69], 0, s[36:37]
	;; [unrolled: 1-line block ×4, first 2 shown]
	s_waitcnt lgkmcnt(0)
	v_max_f32_e32 v18, v18, v18
	v_max_f32_e32 v90, v17, v18
	v_sub_f32_e32 v17, v21, v90
	v_mul_f32_e32 v18, 0x3fb8aa3b, v17
	v_fma_f32 v19, v17, s25, -v18
	v_rndne_f32_e32 v21, v18
	v_fmac_f32_e32 v19, 0x32a5705f, v17
	v_sub_f32_e32 v18, v18, v21
	v_add_f32_e32 v18, v18, v19
	v_exp_f32_e32 v18, v18
	v_cvt_i32_f32_e32 v19, v21
	v_cmp_ngt_f32_e32 vcc, s35, v17
	v_sub_f32_e32 v16, v16, v90
	s_cmp_ge_i32 s24, s21
	v_ldexp_f32 v18, v18, v19
	v_cndmask_b32_e32 v18, 0, v18, vcc
	v_cmp_nlt_f32_e32 vcc, s40, v17
	v_mul_f32_e32 v17, 0x3fb8aa3b, v16
	v_rndne_f32_e32 v19, v17
	v_cndmask_b32_e32 v22, v108, v18, vcc
	v_fma_f32 v18, v16, s25, -v17
	v_fmac_f32_e32 v18, 0x32a5705f, v16
	v_sub_f32_e32 v17, v17, v19
	v_add_f32_e32 v17, v17, v18
	v_exp_f32_e32 v17, v17
	v_cvt_i32_f32_e32 v18, v19
	v_cmp_ngt_f32_e32 vcc, s35, v16
	v_ldexp_f32 v17, v17, v18
	s_nop 0
	v_cndmask_b32_e32 v17, 0, v17, vcc
	v_cmp_nlt_f32_e32 vcc, s40, v16
	s_nop 1
	v_cndmask_b32_e32 v88, v108, v17, vcc
	v_cvt_f16_f32_e32 v16, v88
	ds_write_b16 v94, v16
	v_cvt_f16_f32_e32 v16, v22
	v_mul_u32_u24_e32 v21, 0x10001, v16
	scratch_load_dwordx4 v[16:19], off, off
	s_waitcnt vmcnt(0)
	v_pk_mul_f16 v26, v16, v21
	v_pk_mul_f16 v27, v17, v21
	;; [unrolled: 1-line block ×4, first 2 shown]
	scratch_load_dwordx4 v[16:19], off, off offset:16
	s_waitcnt vmcnt(0)
	v_pk_mul_f16 v16, v16, v21
	v_pk_mul_f16 v17, v17, v21
	;; [unrolled: 1-line block ×4, first 2 shown]
	ds_bpermute_b32 v21, v102, v23
	scratch_store_dwordx4 off, v[16:19], off offset:16
	s_waitcnt lgkmcnt(0)
	v_max_f32_e32 v21, v21, v21
	v_max_f32_e32 v21, v23, v21
	ds_bpermute_b32 v23, v103, v21
	s_waitcnt lgkmcnt(0)
	v_max_f32_e32 v23, v23, v23
	v_max_f32_e32 v21, v21, v23
	ds_bpermute_b32 v23, v104, v21
	s_waitcnt lgkmcnt(0)
	v_max_f32_e32 v23, v23, v23
	v_max_f32_e32 v91, v21, v23
	v_sub_f32_e32 v20, v20, v91
	v_mul_f32_e32 v21, 0x3fb8aa3b, v20
	v_fma_f32 v23, v20, s25, -v21
	v_rndne_f32_e32 v25, v21
	v_fmac_f32_e32 v23, 0x32a5705f, v20
	v_sub_f32_e32 v21, v21, v25
	v_add_f32_e32 v21, v21, v23
	v_exp_f32_e32 v21, v21
	v_cvt_i32_f32_e32 v23, v25
	v_cmp_ngt_f32_e32 vcc, s35, v20
	v_ldexp_f32 v21, v21, v23
	s_nop 0
	v_cndmask_b32_e32 v21, 0, v21, vcc
	v_cmp_nlt_f32_e32 vcc, s40, v20
	v_sub_f32_e32 v20, v24, v91
	s_nop 0
	v_cndmask_b32_e32 v23, v108, v21, vcc
	v_mul_f32_e32 v21, 0x3fb8aa3b, v20
	v_fma_f32 v24, v20, s25, -v21
	v_rndne_f32_e32 v25, v21
	v_fmac_f32_e32 v24, 0x32a5705f, v20
	v_sub_f32_e32 v21, v21, v25
	v_add_f32_e32 v21, v21, v24
	v_exp_f32_e32 v21, v21
	v_cvt_i32_f32_e32 v24, v25
	v_cmp_ngt_f32_e32 vcc, s35, v20
	v_ldexp_f32 v21, v21, v24
	s_nop 0
	v_cndmask_b32_e32 v21, 0, v21, vcc
	v_cmp_nlt_f32_e32 vcc, s40, v20
	s_nop 1
	v_cndmask_b32_e32 v89, v108, v21, vcc
	v_cvt_f16_f32_e32 v20, v89
	v_pk_fma_f32 v[32:33], v[32:33], v[22:23], v[88:89]
	ds_write_b16 v94, v20 offset:256
	v_cvt_f16_f32_e32 v20, v23
	v_mul_u32_u24_e32 v30, 0x10001, v20
	scratch_load_dwordx4 v[20:23], off, off offset:32
	s_waitcnt vmcnt(0)
	v_pk_mul_f16 v109, v20, v30
	v_pk_mul_f16 v111, v22, v30
	v_pk_mul_f16 v20, v23, v30
	scratch_load_dwordx4 v[22:25], off, off offset:48
	v_pk_mul_f16 v110, v21, v30
	s_waitcnt vmcnt(0)
	v_pk_mul_f16 v21, v22, v30
	v_pk_mul_f16 v22, v23, v30
	;; [unrolled: 1-line block ×3, first 2 shown]
	scratch_store_dwordx4 off, v[20:23], off offset:44
	ds_read_u16 v22, v105 offset:256
	s_waitcnt lgkmcnt(0)
	v_mul_u32_u24_e32 v114, 0x10001, v22
	v_pk_mul_f16 v21, v25, v30
	scratch_store_dword off, v21, off offset:60
	ds_read_u16 v21, v105
	v_lshl_add_u64 v[30:31], v[66:67], 0, s[28:29]
	global_load_dwordx4 v[22:25], v[30:31], off
	v_lshl_add_u64 v[66:67], v[66:67], 0, s[46:47]
	s_waitcnt lgkmcnt(0)
	v_mul_u32_u24_e32 v21, 0x10001, v21
	s_waitcnt vmcnt(0)
	v_lshlrev_b32_e32 v112, 16, v22
	v_and_b32_e32 v22, 0xffff0000, v22
	v_lshlrev_b32_e32 v113, 16, v23
	v_and_b32_e32 v23, 0xffff0000, v23
	v_lshlrev_b32_e32 v115, 16, v24
	v_and_b32_e32 v24, 0xffff0000, v24
	v_cvt_pk_f16_f32 v112, v112, v22
	v_cvt_pk_f16_f32 v113, v113, v23
	;; [unrolled: 1-line block ×3, first 2 shown]
	v_pk_fma_f16 v22, v112, v21, v26
	v_pk_fma_f16 v26, v112, v114, v109
	;; [unrolled: 1-line block ×6, first 2 shown]
	global_load_dwordx4 v[110:113], v[30:31], off offset:128
	v_lshlrev_b32_e32 v116, 16, v25
	v_and_b32_e32 v25, 0xffff0000, v25
	v_cvt_pk_f16_f32 v116, v116, v25
	v_pk_fma_f16 v25, v116, v21, v29
	v_pk_fma_f16 v29, v116, v114, v20
	scratch_store_dwordx4 off, v[22:25], off
	scratch_store_dwordx4 off, v[26:29], off offset:32
	s_waitcnt vmcnt(2)
	v_lshlrev_b32_e32 v20, 16, v110
	v_and_b32_e32 v30, 0xffff0000, v110
	v_lshlrev_b32_e32 v31, 16, v111
	v_and_b32_e32 v109, 0xffff0000, v111
	v_lshlrev_b32_e32 v110, 16, v112
	v_and_b32_e32 v111, 0xffff0000, v112
	v_lshlrev_b32_e32 v112, 16, v113
	v_and_b32_e32 v113, 0xffff0000, v113
	v_cvt_pk_f16_f32 v20, v20, v30
	v_cvt_pk_f16_f32 v30, v31, v109
	;; [unrolled: 1-line block ×4, first 2 shown]
	scratch_load_dwordx4 v[110:113], off, off offset:48
	v_pk_fma_f16 v17, v30, v21, v17
	v_pk_fma_f16 v18, v31, v21, v18
	;; [unrolled: 1-line block ×4, first 2 shown]
	scratch_store_dwordx4 off, v[16:19], off offset:16
	s_waitcnt vmcnt(1)
	v_pk_fma_f16 v111, v30, v114, v111
	v_pk_fma_f16 v112, v31, v114, v112
	v_lshl_add_u64 v[30:31], v[74:75], 0, s[28:29]
	v_pk_fma_f16 v110, v20, v114, v110
	v_pk_fma_f16 v113, v109, v114, v113
	global_load_dwordx4 v[114:117], v[30:31], off
	ds_read_u16 v20, v106 offset:8
	scratch_store_dwordx4 off, v[110:113], off offset:48
	v_lshl_add_u64 v[74:75], v[74:75], 0, s[46:47]
	s_waitcnt lgkmcnt(0)
	v_mul_u32_u24_e32 v109, 0x10001, v20
	ds_read_u16 v20, v106 offset:264
	s_waitcnt lgkmcnt(0)
	v_mul_u32_u24_e32 v118, 0x10001, v20
	s_waitcnt vmcnt(1)
	v_lshlrev_b32_e32 v20, 16, v114
	v_and_b32_e32 v21, 0xffff0000, v114
	v_lshlrev_b32_e32 v114, 16, v115
	v_and_b32_e32 v115, 0xffff0000, v115
	;; [unrolled: 2-line block ×4, first 2 shown]
	v_cvt_pk_f16_f32 v21, v20, v21
	v_cvt_pk_f16_f32 v114, v114, v115
	v_cvt_pk_f16_f32 v115, v119, v116
	v_cvt_pk_f16_f32 v116, v120, v117
	v_pk_fma_f16 v20, v21, v109, v22
	v_pk_fma_f16 v26, v21, v118, v26
	;; [unrolled: 1-line block ×8, first 2 shown]
	global_load_dwordx4 v[114:117], v[30:31], off offset:128
	s_waitcnt vmcnt(0)
	v_lshlrev_b32_e32 v24, 16, v114
	v_and_b32_e32 v25, 0xffff0000, v114
	v_lshlrev_b32_e32 v30, 16, v115
	v_and_b32_e32 v31, 0xffff0000, v115
	;; [unrolled: 2-line block ×4, first 2 shown]
	v_cvt_pk_f16_f32 v24, v24, v25
	v_cvt_pk_f16_f32 v25, v30, v31
	;; [unrolled: 1-line block ×4, first 2 shown]
	v_pk_fma_f16 v18, v30, v109, v18
	v_pk_fma_f16 v112, v30, v118, v112
	;; [unrolled: 1-line block ×4, first 2 shown]
	v_lshl_add_u64 v[30:31], v[78:79], 0, s[28:29]
	global_load_dwordx4 v[114:117], v[30:31], off
	v_pk_fma_f16 v16, v24, v109, v16
	v_pk_fma_f16 v110, v24, v118, v110
	ds_read_u16 v24, v106 offset:16
	v_pk_fma_f16 v17, v25, v109, v17
	v_pk_fma_f16 v111, v25, v118, v111
	scratch_store_dwordx4 off, v[20:23], off
	scratch_store_dwordx4 off, v[26:29], off offset:32
	s_waitcnt lgkmcnt(0)
	v_mul_u32_u24_e32 v109, 0x10001, v24
	ds_read_u16 v24, v106 offset:272
	scratch_store_dwordx4 off, v[16:19], off offset:16
	scratch_store_dwordx4 off, v[110:113], off offset:48
	v_lshl_add_u64 v[78:79], v[78:79], 0, s[46:47]
	s_waitcnt lgkmcnt(0)
	v_mul_u32_u24_e32 v118, 0x10001, v24
	s_waitcnt vmcnt(4)
	v_lshlrev_b32_e32 v24, 16, v114
	v_and_b32_e32 v25, 0xffff0000, v114
	v_lshlrev_b32_e32 v114, 16, v115
	v_and_b32_e32 v115, 0xffff0000, v115
	;; [unrolled: 2-line block ×4, first 2 shown]
	v_cvt_pk_f16_f32 v24, v24, v25
	v_cvt_pk_f16_f32 v25, v114, v115
	;; [unrolled: 1-line block ×4, first 2 shown]
	v_pk_fma_f16 v20, v24, v109, v20
	v_pk_fma_f16 v24, v24, v118, v26
	;; [unrolled: 1-line block ×6, first 2 shown]
	global_load_dwordx4 v[28:31], v[30:31], off offset:128
	v_pk_fma_f16 v22, v114, v109, v22
	v_pk_fma_f16 v23, v115, v109, v23
	scratch_store_dwordx4 off, v[20:23], off
	scratch_store_dwordx4 off, v[24:27], off offset:32
	s_waitcnt vmcnt(2)
	v_lshlrev_b32_e32 v114, 16, v28
	v_and_b32_e32 v28, 0xffff0000, v28
	v_lshlrev_b32_e32 v115, 16, v29
	v_and_b32_e32 v29, 0xffff0000, v29
	;; [unrolled: 2-line block ×4, first 2 shown]
	v_cvt_pk_f16_f32 v28, v114, v28
	v_cvt_pk_f16_f32 v29, v115, v29
	;; [unrolled: 1-line block ×4, first 2 shown]
	v_pk_fma_f16 v16, v28, v109, v16
	v_pk_fma_f16 v28, v28, v118, v110
	v_pk_fma_f16 v17, v29, v109, v17
	v_pk_fma_f16 v18, v30, v109, v18
	v_pk_fma_f16 v19, v31, v109, v19
	ds_read_u16 v109, v106 offset:24
	ds_read_u16 v110, v106 offset:280
	v_lshl_add_u64 v[114:115], v[82:83], 0, s[28:29]
	v_pk_fma_f16 v29, v29, v118, v111
	v_pk_fma_f16 v30, v30, v118, v112
	;; [unrolled: 1-line block ×3, first 2 shown]
	s_waitcnt lgkmcnt(0)
	v_mul_u32_u24_e32 v116, 0x10001, v110
	global_load_dwordx4 v[110:113], v[114:115], off
	v_mul_u32_u24_e32 v109, 0x10001, v109
	scratch_store_dwordx4 off, v[16:19], off offset:16
	scratch_store_dwordx4 off, v[28:31], off offset:48
	v_lshl_add_u64 v[82:83], v[82:83], 0, s[46:47]
	s_waitcnt vmcnt(2)
	v_lshlrev_b32_e32 v117, 16, v110
	v_and_b32_e32 v110, 0xffff0000, v110
	v_lshlrev_b32_e32 v118, 16, v111
	v_and_b32_e32 v111, 0xffff0000, v111
	;; [unrolled: 2-line block ×4, first 2 shown]
	v_cvt_pk_f16_f32 v110, v117, v110
	v_cvt_pk_f16_f32 v111, v118, v111
	;; [unrolled: 1-line block ×4, first 2 shown]
	v_pk_fma_f16 v20, v110, v109, v20
	v_pk_fma_f16 v24, v110, v116, v24
	;; [unrolled: 1-line block ×8, first 2 shown]
	global_load_dwordx4 v[110:113], v[114:115], off offset:128
	s_waitcnt vmcnt(0)
	v_lshlrev_b32_e32 v114, 16, v110
	v_and_b32_e32 v110, 0xffff0000, v110
	v_lshlrev_b32_e32 v115, 16, v111
	v_and_b32_e32 v111, 0xffff0000, v111
	;; [unrolled: 2-line block ×4, first 2 shown]
	v_cvt_pk_f16_f32 v110, v114, v110
	v_cvt_pk_f16_f32 v111, v115, v111
	;; [unrolled: 1-line block ×4, first 2 shown]
	v_pk_fma_f16 v16, v110, v109, v16
	v_pk_fma_f16 v28, v110, v116, v28
	;; [unrolled: 1-line block ×5, first 2 shown]
	ds_read_u16 v109, v105 offset:32
	ds_read_u16 v110, v105 offset:288
	v_lshl_add_u64 v[114:115], v[86:87], 0, s[28:29]
	v_pk_fma_f16 v29, v111, v116, v29
	v_pk_fma_f16 v30, v112, v116, v30
	v_pk_fma_f16 v31, v113, v116, v31
	s_waitcnt lgkmcnt(0)
	v_mul_u32_u24_e32 v116, 0x10001, v110
	global_load_dwordx4 v[110:113], v[114:115], off
	v_mul_u32_u24_e32 v109, 0x10001, v109
	scratch_store_dwordx4 off, v[20:23], off
	scratch_store_dwordx4 off, v[24:27], off offset:32
	scratch_store_dwordx4 off, v[16:19], off offset:16
	;; [unrolled: 1-line block ×3, first 2 shown]
	v_lshl_add_u64 v[86:87], v[86:87], 0, s[46:47]
	s_waitcnt vmcnt(4)
	v_lshlrev_b32_e32 v117, 16, v110
	v_and_b32_e32 v110, 0xffff0000, v110
	v_lshlrev_b32_e32 v118, 16, v111
	v_and_b32_e32 v111, 0xffff0000, v111
	;; [unrolled: 2-line block ×4, first 2 shown]
	v_cvt_pk_f16_f32 v110, v117, v110
	v_cvt_pk_f16_f32 v111, v118, v111
	;; [unrolled: 1-line block ×4, first 2 shown]
	v_pk_fma_f16 v20, v110, v109, v20
	v_pk_fma_f16 v24, v110, v116, v24
	;; [unrolled: 1-line block ×8, first 2 shown]
	global_load_dwordx4 v[110:113], v[114:115], off offset:128
	s_waitcnt vmcnt(0)
	v_lshlrev_b32_e32 v114, 16, v110
	v_and_b32_e32 v110, 0xffff0000, v110
	v_lshlrev_b32_e32 v115, 16, v111
	v_and_b32_e32 v111, 0xffff0000, v111
	;; [unrolled: 2-line block ×4, first 2 shown]
	v_cvt_pk_f16_f32 v110, v114, v110
	v_cvt_pk_f16_f32 v111, v115, v111
	;; [unrolled: 1-line block ×4, first 2 shown]
	v_pk_fma_f16 v16, v110, v109, v16
	v_pk_fma_f16 v28, v110, v116, v28
	;; [unrolled: 1-line block ×5, first 2 shown]
	ds_read_u16 v109, v106 offset:40
	ds_read_u16 v110, v106 offset:296
	v_lshl_add_u64 v[114:115], v[84:85], 0, s[28:29]
	v_pk_fma_f16 v29, v111, v116, v29
	v_pk_fma_f16 v30, v112, v116, v30
	;; [unrolled: 1-line block ×3, first 2 shown]
	s_waitcnt lgkmcnt(0)
	v_mul_u32_u24_e32 v116, 0x10001, v110
	global_load_dwordx4 v[110:113], v[114:115], off
	v_mul_u32_u24_e32 v109, 0x10001, v109
	scratch_store_dwordx4 off, v[20:23], off
	scratch_store_dwordx4 off, v[24:27], off offset:32
	scratch_store_dwordx4 off, v[16:19], off offset:16
	;; [unrolled: 1-line block ×3, first 2 shown]
	v_lshl_add_u64 v[84:85], v[84:85], 0, s[46:47]
	s_waitcnt vmcnt(4)
	v_lshlrev_b32_e32 v117, 16, v110
	v_and_b32_e32 v110, 0xffff0000, v110
	v_lshlrev_b32_e32 v118, 16, v111
	v_and_b32_e32 v111, 0xffff0000, v111
	;; [unrolled: 2-line block ×4, first 2 shown]
	v_cvt_pk_f16_f32 v110, v117, v110
	v_cvt_pk_f16_f32 v111, v118, v111
	;; [unrolled: 1-line block ×4, first 2 shown]
	v_pk_fma_f16 v20, v110, v109, v20
	v_pk_fma_f16 v24, v110, v116, v24
	;; [unrolled: 1-line block ×8, first 2 shown]
	global_load_dwordx4 v[110:113], v[114:115], off offset:128
	s_waitcnt vmcnt(0)
	v_lshlrev_b32_e32 v114, 16, v110
	v_and_b32_e32 v110, 0xffff0000, v110
	v_cvt_pk_f16_f32 v110, v114, v110
	v_pk_fma_f16 v16, v110, v109, v16
	v_pk_fma_f16 v110, v110, v116, v28
	ds_read_u16 v28, v106 offset:48
	v_lshlrev_b32_e32 v115, 16, v111
	v_and_b32_e32 v111, 0xffff0000, v111
	v_lshlrev_b32_e32 v117, 16, v112
	v_and_b32_e32 v112, 0xffff0000, v112
	;; [unrolled: 2-line block ×3, first 2 shown]
	v_cvt_pk_f16_f32 v111, v115, v111
	v_cvt_pk_f16_f32 v112, v117, v112
	;; [unrolled: 1-line block ×3, first 2 shown]
	v_pk_fma_f16 v17, v111, v109, v17
	v_pk_fma_f16 v18, v112, v109, v18
	;; [unrolled: 1-line block ×3, first 2 shown]
	s_waitcnt lgkmcnt(0)
	v_mul_u32_u24_e32 v109, 0x10001, v28
	ds_read_u16 v28, v106 offset:304
	v_lshl_add_u64 v[114:115], v[80:81], 0, s[28:29]
	v_pk_fma_f16 v111, v111, v116, v29
	v_pk_fma_f16 v112, v112, v116, v30
	;; [unrolled: 1-line block ×3, first 2 shown]
	s_waitcnt lgkmcnt(0)
	v_mul_u32_u24_e32 v116, 0x10001, v28
	global_load_dwordx4 v[28:31], v[114:115], off
	v_lshl_add_u64 v[80:81], v[80:81], 0, s[46:47]
	scratch_store_dwordx4 off, v[20:23], off
	scratch_store_dwordx4 off, v[24:27], off offset:32
	scratch_store_dwordx4 off, v[16:19], off offset:16
	;; [unrolled: 1-line block ×3, first 2 shown]
	s_waitcnt vmcnt(4)
	v_lshlrev_b32_e32 v117, 16, v28
	v_and_b32_e32 v28, 0xffff0000, v28
	v_lshlrev_b32_e32 v118, 16, v29
	v_and_b32_e32 v29, 0xffff0000, v29
	;; [unrolled: 2-line block ×4, first 2 shown]
	v_cvt_pk_f16_f32 v117, v117, v28
	v_cvt_pk_f16_f32 v118, v118, v29
	;; [unrolled: 1-line block ×4, first 2 shown]
	v_pk_fma_f16 v28, v117, v109, v20
	v_pk_fma_f16 v29, v118, v109, v21
	;; [unrolled: 1-line block ×4, first 2 shown]
	global_load_dwordx4 v[20:23], v[114:115], off offset:128
	v_pk_fma_f16 v24, v117, v116, v24
	v_pk_fma_f16 v25, v118, v116, v25
	;; [unrolled: 1-line block ×4, first 2 shown]
	scratch_store_dwordx4 off, v[24:27], off offset:32
	scratch_store_dwordx4 off, v[28:31], off
	s_waitcnt vmcnt(2)
	v_lshlrev_b32_e32 v114, 16, v20
	v_and_b32_e32 v20, 0xffff0000, v20
	v_lshlrev_b32_e32 v115, 16, v21
	v_and_b32_e32 v21, 0xffff0000, v21
	;; [unrolled: 2-line block ×4, first 2 shown]
	v_cvt_pk_f16_f32 v114, v114, v20
	v_cvt_pk_f16_f32 v115, v115, v21
	;; [unrolled: 1-line block ×4, first 2 shown]
	v_pk_fma_f16 v20, v114, v109, v16
	v_pk_fma_f16 v16, v114, v116, v110
	v_pk_fma_f16 v21, v115, v109, v17
	v_pk_fma_f16 v22, v117, v109, v18
	v_pk_fma_f16 v23, v118, v109, v19
	ds_read_u16 v109, v106 offset:56
	ds_read_u16 v110, v106 offset:312
	v_pk_fma_f16 v17, v115, v116, v111
	v_lshl_add_u64 v[114:115], v[76:77], 0, s[28:29]
	v_pk_fma_f16 v18, v117, v116, v112
	v_pk_fma_f16 v19, v118, v116, v113
	s_waitcnt lgkmcnt(0)
	v_mul_u32_u24_e32 v116, 0x10001, v110
	global_load_dwordx4 v[110:113], v[114:115], off
	v_mul_u32_u24_e32 v109, 0x10001, v109
	scratch_store_dwordx4 off, v[20:23], off offset:16
	scratch_store_dwordx4 off, v[16:19], off offset:48
	v_lshl_add_u64 v[76:77], v[76:77], 0, s[46:47]
	s_waitcnt vmcnt(2)
	v_lshlrev_b32_e32 v117, 16, v110
	v_and_b32_e32 v110, 0xffff0000, v110
	v_lshlrev_b32_e32 v118, 16, v111
	v_and_b32_e32 v111, 0xffff0000, v111
	;; [unrolled: 2-line block ×4, first 2 shown]
	v_cvt_pk_f16_f32 v110, v117, v110
	v_cvt_pk_f16_f32 v111, v118, v111
	;; [unrolled: 1-line block ×4, first 2 shown]
	v_pk_fma_f16 v24, v110, v116, v24
	v_pk_fma_f16 v25, v111, v116, v25
	;; [unrolled: 1-line block ×4, first 2 shown]
	scratch_store_dwordx4 off, v[24:27], off offset:32
	global_load_dwordx4 v[24:27], v[114:115], off offset:128
	v_pk_fma_f16 v28, v110, v109, v28
	v_pk_fma_f16 v29, v111, v109, v29
	;; [unrolled: 1-line block ×4, first 2 shown]
	scratch_store_dwordx4 off, v[28:31], off
	s_waitcnt vmcnt(1)
	s_nop 0
	v_lshlrev_b32_e32 v28, 16, v24
	v_and_b32_e32 v24, 0xffff0000, v24
	v_lshlrev_b32_e32 v29, 16, v25
	v_and_b32_e32 v25, 0xffff0000, v25
	;; [unrolled: 2-line block ×4, first 2 shown]
	v_cvt_pk_f16_f32 v24, v28, v24
	v_cvt_pk_f16_f32 v25, v29, v25
	;; [unrolled: 1-line block ×4, first 2 shown]
	v_pk_fma_f16 v20, v24, v109, v20
	v_pk_fma_f16 v16, v24, v116, v16
	v_pk_fma_f16 v21, v25, v109, v21
	v_pk_fma_f16 v17, v25, v116, v17
	v_pk_fma_f16 v22, v26, v109, v22
	v_pk_fma_f16 v18, v26, v116, v18
	v_pk_fma_f16 v23, v27, v109, v23
	v_pk_fma_f16 v19, v27, v116, v19
	scratch_store_dwordx4 off, v[20:23], off offset:16
	scratch_store_dwordx4 off, v[16:19], off offset:48
	s_cbranch_scc1 .LBB22_68
; %bb.66:                               ;   in Loop: Header=BB22_17 Depth=1
	v_mov_b32_e32 v21, v90
	v_mov_b32_e32 v20, v91
	s_branch .LBB22_17
.LBB22_67:
	v_mov_b32_e32 v90, 0xfeffffff
	v_mov_b32_e32 v91, v90
	;; [unrolled: 1-line block ×3, first 2 shown]
.LBB22_68:
	s_cmp_eq_u64 s[44:45], 0
	s_cselect_b64 s[4:5], -1, 0
	s_cmp_lg_u32 s3, 0
	s_cselect_b64 s[6:7], -1, 0
	s_or_b64 s[4:5], s[6:7], s[4:5]
	s_nor_b64 s[4:5], s[4:5], s[16:17]
	s_and_saveexec_b64 s[8:9], s[4:5]
	s_cbranch_execz .LBB22_70
; %bb.69:
	scratch_load_dwordx4 v[0:3], v99, off
	scratch_load_dwordx4 v[4:7], v99, off offset:16
	s_ashr_i32 s21, s20, 31
	s_lshl_b64 s[4:5], s[20:21], 2
	s_add_u32 s4, s44, s4
	s_addc_u32 s5, s45, s5
	s_load_dword s4, s[4:5], 0x0
	v_cmp_eq_u32_e32 vcc, 1, v95
	s_mov_b32 s2, 0x3fb8aa3b
	s_mov_b32 s10, 0xc2ce8ed0
	v_cndmask_b32_e32 v8, v90, v91, vcc
	v_max_f32_e32 v10, v8, v8
	s_waitcnt lgkmcnt(0)
	v_max_f32_e64 v12, s4, s4
	v_max_f32_e32 v10, v12, v10
	v_sub_f32_e32 v8, v8, v10
	v_sub_f32_e32 v12, s4, v10
	v_mul_f32_e32 v13, 0x3fb8aa3b, v8
	v_mul_f32_e32 v14, 0x3fb8aa3b, v12
	v_fma_f32 v15, v8, s2, -v13
	v_rndne_f32_e32 v16, v13
	v_fma_f32 v17, v12, s2, -v14
	v_rndne_f32_e32 v18, v14
	v_fmac_f32_e32 v15, 0x32a5705f, v8
	v_sub_f32_e32 v13, v13, v16
	v_fmac_f32_e32 v17, 0x32a5705f, v12
	v_sub_f32_e32 v14, v14, v18
	v_add_f32_e32 v13, v13, v15
	v_cvt_i32_f32_e32 v16, v16
	v_add_f32_e32 v14, v14, v17
	v_exp_f32_e32 v13, v13
	v_cvt_i32_f32_e32 v18, v18
	v_exp_f32_e32 v14, v14
	v_cmp_eq_u32_e64 s[4:5], 0, v95
	v_cndmask_b32_e32 v91, v91, v10, vcc
	v_cmp_ngt_f32_e64 s[6:7], s10, v8
	v_cndmask_b32_e64 v90, v90, v10, s[4:5]
	v_ldexp_f32 v10, v13, v16
	s_mov_b32 s11, 0x42b17218
	v_ldexp_f32 v13, v14, v18
	v_cndmask_b32_e64 v10, 0, v10, s[6:7]
	v_cmp_ngt_f32_e64 s[6:7], s10, v12
	v_mov_b32_e32 v9, 0x7f800000
	v_cndmask_b32_e32 v11, v32, v33, vcc
	v_cndmask_b32_e64 v13, 0, v13, s[6:7]
	v_cmp_nlt_f32_e64 s[6:7], s11, v8
	s_nop 1
	v_cndmask_b32_e64 v8, v9, v10, s[6:7]
	v_cvt_f16_f32_e32 v10, v8
	v_cmp_nlt_f32_e64 s[6:7], s11, v12
	s_nop 1
	v_cndmask_b32_e64 v9, v9, v13, s[6:7]
	v_cmp_eq_u32_e64 s[6:7], 0, v92
	s_nop 1
	v_cndmask_b32_e64 v9, 0, v9, s[6:7]
	v_fmac_f32_e32 v9, v11, v8
	v_mul_u32_u24_e32 v8, 0x10001, v10
	v_cndmask_b32_e32 v33, v33, v9, vcc
	v_cndmask_b32_e64 v32, v32, v9, s[4:5]
	s_waitcnt vmcnt(1)
	v_pk_mul_f16 v0, v0, v8
	v_pk_mul_f16 v1, v1, v8
	;; [unrolled: 1-line block ×4, first 2 shown]
	s_waitcnt vmcnt(0)
	v_pk_mul_f16 v4, v4, v8
	v_pk_mul_f16 v5, v5, v8
	;; [unrolled: 1-line block ×4, first 2 shown]
	scratch_store_dwordx4 v99, v[0:3], off
	scratch_store_dwordx4 v99, v[4:7], off offset:16
.LBB22_70:
	s_or_b64 exec, exec, s[8:9]
	v_cmp_eq_u32_e32 vcc, 0, v95
	v_add_u32_e32 v4, 0x1100, v96
	v_or_b32_e32 v10, 0x1000, v96
	s_and_saveexec_b64 s[4:5], vcc
	s_cbranch_execz .LBB22_72
; %bb.71:
	v_mov_b32_e32 v0, 0xfeffffff
	v_mov_b32_e32 v1, 0
	ds_write2_b32 v10, v0, v0 offset1:32
	ds_write2_b32 v4, v1, v1 offset1:32
.LBB22_72:
	s_or_b64 exec, exec, s[4:5]
	v_cmp_eq_u32_e64 s[4:5], 0, v92
	s_waitcnt lgkmcnt(0)
	s_barrier
	s_and_saveexec_b64 s[6:7], s[4:5]
; %bb.73:
	v_lshlrev_b32_e32 v0, 2, v95
	v_add_u32_e32 v0, 0x1000, v0
	ds_write2_b32 v0, v90, v91 offset1:32
; %bb.74:
	s_or_b64 exec, exec, s[6:7]
	s_cmp_lt_i32 s22, s18
	s_waitcnt lgkmcnt(0)
	s_barrier
	s_cbranch_scc1 .LBB22_76
; %bb.75:
	s_add_u32 s6, s0, 0xd0
	s_addc_u32 s7, s1, 0
	s_mul_i32 s33, s33, s18
	s_cbranch_execz .LBB22_77
	s_branch .LBB22_85
.LBB22_76:
                                        ; implicit-def: $sgpr6_sgpr7
	s_mul_i32 s33, s33, s18
.LBB22_77:
	v_mbcnt_hi_u32_b32 v0, -1, v98
	ds_read_b32 v3, v10
	v_and_b32_e32 v5, 0x60, v0
	scratch_load_dwordx4 v[14:17], off, off
	scratch_load_dwordx4 v[18:21], off, off offset:16
	v_xor_b32_e32 v6, 16, v0
	v_add_u32_e32 v8, 32, v5
	v_cmp_lt_i32_e32 vcc, v6, v8
	v_xor_b32_e32 v7, 8, v0
	v_xor_b32_e32 v12, 1, v0
	v_cndmask_b32_e32 v5, v0, v6, vcc
	v_lshlrev_b32_e32 v9, 2, v5
	s_waitcnt lgkmcnt(0)
	ds_bpermute_b32 v6, v9, v3
	v_cmp_lt_i32_e32 vcc, v7, v8
	v_max_f32_e32 v3, v3, v3
	s_mov_b32 s2, 0x3fb8aa3b
	v_cndmask_b32_e32 v5, v0, v7, vcc
	s_waitcnt lgkmcnt(0)
	v_max_f32_e32 v6, v6, v6
	v_lshlrev_b32_e32 v5, 2, v5
	v_max_f32_e32 v3, v3, v6
	ds_bpermute_b32 v7, v5, v3
	v_xor_b32_e32 v6, 4, v0
	v_cmp_lt_i32_e32 vcc, v6, v8
	s_mov_b32 s7, 0x42b17218
	v_mov_b32_e32 v1, 0x1100
	v_cndmask_b32_e32 v6, v0, v6, vcc
	s_waitcnt lgkmcnt(0)
	v_max_f32_e32 v7, v7, v7
	v_lshlrev_b32_e32 v6, 2, v6
	v_max_f32_e32 v3, v3, v7
	ds_bpermute_b32 v11, v6, v3
	v_xor_b32_e32 v7, 2, v0
	v_cmp_lt_i32_e32 vcc, v7, v8
	v_lshlrev_b32_e32 v2, 5, v92
	s_movk_i32 s8, 0x70
	v_cndmask_b32_e32 v7, v0, v7, vcc
	s_waitcnt lgkmcnt(0)
	v_max_f32_e32 v11, v11, v11
	v_lshlrev_b32_e32 v7, 2, v7
	v_max_f32_e32 v3, v3, v11
	ds_bpermute_b32 v11, v7, v3
	v_cmp_lt_i32_e32 vcc, v12, v8
	s_add_u32 s6, s0, 0xd0
	s_nop 0
	v_cndmask_b32_e32 v0, v0, v12, vcc
	v_lshlrev_b32_e32 v8, 2, v0
	s_waitcnt lgkmcnt(0)
	v_max_f32_e32 v0, v11, v11
	v_max_f32_e32 v0, v3, v0
	ds_bpermute_b32 v3, v8, v0
	v_lshlrev_b32_e32 v12, 4, v92
	s_waitcnt lgkmcnt(0)
	v_max_f32_e32 v3, v3, v3
	v_max_f32_e32 v0, v0, v3
	v_sub_f32_e32 v3, v90, v0
	v_mul_f32_e32 v11, 0x3fb8aa3b, v3
	v_fma_f32 v13, v3, s2, -v11
	v_rndne_f32_e32 v22, v11
	v_fmamk_f32 v13, v3, 0x32a5705f, v13
	v_sub_f32_e32 v11, v11, v22
	v_add_f32_e32 v11, v11, v13
	v_cvt_i32_f32_e32 v22, v22
	v_exp_f32_e32 v11, v11
	s_mov_b32 s2, 0xc2ce8ed0
	v_cmp_ngt_f32_e32 vcc, s2, v3
	v_mov_b32_e32 v13, 0x7f800000
	v_ldexp_f32 v11, v11, v22
	v_cndmask_b32_e32 v11, 0, v11, vcc
	v_cmp_nlt_f32_e32 vcc, s7, v3
	s_load_dword s2, s[0:1], 0xd4
	s_addc_u32 s7, s1, 0
	v_cndmask_b32_e32 v3, v13, v11, vcc
	v_mul_f32_e32 v11, v32, v3
	ds_bpermute_b32 v13, v9, v11
	v_lshl_add_u32 v11, v95, 2, v1
	v_and_b32_e32 v1, 0xf00, v2
	v_cvt_f16_f32_e32 v2, v3
	v_lshl_add_u32 v1, v95, 10, v1
	s_waitcnt lgkmcnt(0)
	v_fmac_f32_e32 v13, v32, v3
	ds_bpermute_b32 v3, v5, v13
	v_and_or_b32 v12, v12, s8, v1
	v_mul_u32_u24_e32 v22, 0x10001, v2
	s_waitcnt lgkmcnt(0)
	v_add_f32_e32 v1, v13, v3
	ds_bpermute_b32 v2, v6, v1
	s_waitcnt vmcnt(1)
	v_pk_mul_f16 v14, v14, v22
	v_pk_mul_f16 v15, v15, v22
	;; [unrolled: 1-line block ×4, first 2 shown]
	s_waitcnt lgkmcnt(0)
	v_add_f32_e32 v1, v1, v2
	ds_bpermute_b32 v2, v7, v1
	s_waitcnt vmcnt(0)
	v_pk_mul_f16 v18, v18, v22
	v_pk_mul_f16 v19, v19, v22
	;; [unrolled: 1-line block ×4, first 2 shown]
	s_waitcnt lgkmcnt(0)
	v_add_f32_e32 v1, v1, v2
	ds_bpermute_b32 v2, v8, v1
	scratch_store_dwordx4 off, v[14:17], off
	scratch_store_dwordx4 off, v[18:21], off offset:16
	ds_write_b128 v12, v[14:17]
	ds_write_b128 v12, v[18:21] offset:128
	s_and_saveexec_b64 s[0:1], s[4:5]
	s_cbranch_execz .LBB22_79
; %bb.78:
	s_waitcnt lgkmcnt(2)
	v_add_f32_e32 v1, v1, v2
	ds_write_b32 v11, v1
.LBB22_79:
	s_or_b64 exec, exec, s[0:1]
	s_waitcnt lgkmcnt(0)
	s_barrier
	ds_read_b32 v3, v4
	ds_read_u16 v1, v94
	ds_read_u16 v2, v94 offset:256
	ds_read_u16 v13, v94 offset:512
	;; [unrolled: 1-line block ×6, first 2 shown]
	s_waitcnt lgkmcnt(6)
	v_cvt_f32_f16_e32 v1, v1
	s_waitcnt lgkmcnt(5)
	v_cvt_f32_f16_e32 v2, v2
	;; [unrolled: 2-line block ×4, first 2 shown]
	v_add_f32_e32 v1, 0, v1
	v_add_f32_e32 v1, v1, v2
	s_waitcnt lgkmcnt(2)
	v_cvt_f32_f16_e32 v2, v16
	v_add_f32_e32 v1, v1, v13
	s_waitcnt lgkmcnt(1)
	v_cvt_f32_f16_e32 v13, v17
	v_add_f32_e32 v1, v1, v14
	s_waitcnt lgkmcnt(0)
	v_cvt_f32_f16_e32 v14, v18
	ds_read_u16 v16, v94 offset:1792
	ds_read_u16 v17, v94 offset:2048
	;; [unrolled: 1-line block ×8, first 2 shown]
	s_waitcnt lgkmcnt(7)
	v_cvt_f32_f16_e32 v16, v16
	v_add_f32_e32 v1, v1, v2
	v_add_f32_e32 v1, v1, v13
	s_waitcnt lgkmcnt(6)
	v_cvt_f32_f16_e32 v2, v17
	v_add_f32_e32 v1, v1, v14
	s_waitcnt lgkmcnt(5)
	v_cvt_f32_f16_e32 v13, v18
	ds_bpermute_b32 v15, v9, v3
	v_add_f32_e32 v1, v1, v16
	s_waitcnt lgkmcnt(5)
	v_cvt_f32_f16_e32 v16, v19
	s_waitcnt lgkmcnt(4)
	v_cvt_f32_f16_e32 v14, v20
	v_add_f32_e32 v1, v1, v2
	v_add_f32_e32 v1, v1, v13
	;; [unrolled: 1-line block ×3, first 2 shown]
	s_waitcnt lgkmcnt(0)
	v_pk_add_f32 v[2:3], v[2:3], v[14:15]
	ds_bpermute_b32 v15, v5, v3
	v_cvt_f32_f16_e32 v14, v21
	ds_read_u16 v1, v94 offset:3840
	s_cmp_eq_u32 s2, 1
	s_waitcnt lgkmcnt(1)
	v_pk_add_f32 v[2:3], v[2:3], v[14:15]
	ds_bpermute_b32 v15, v6, v3
	v_cvt_f32_f16_e32 v14, v22
	s_waitcnt lgkmcnt(0)
	v_pk_add_f32 v[2:3], v[2:3], v[14:15]
	ds_bpermute_b32 v15, v7, v3
	v_cvt_f32_f16_e32 v14, v23
	;; [unrolled: 4-line block ×3, first 2 shown]
	s_waitcnt lgkmcnt(0)
	v_pk_add_f32 v[2:3], v[2:3], v[14:15]
	s_nop 0
	v_div_scale_f32 v1, s[0:1], v3, v3, v2
	v_rcp_f32_e32 v13, v1
	s_cselect_b64 s[0:1], -1, 0
	s_add_i32 s8, s22, s33
	s_mul_i32 s10, s8, s19
	v_fma_f32 v14, -v1, v13, 1.0
	v_fmac_f32_e32 v13, v14, v13
	v_div_scale_f32 v14, vcc, v2, v3, v2
	v_mul_f32_e32 v15, v14, v13
	v_fma_f32 v16, -v1, v15, v14
	v_fmac_f32_e32 v15, v16, v13
	s_add_i32 s10, s10, s20
	v_fma_f32 v1, -v1, v15, v14
	s_mul_i32 s8, s2, s10
	v_div_fmas_f32 v1, v1, v13, v15
	s_add_i32 s8, s8, s3
	v_div_fixup_f32 v13, v1, v3, v2
	v_lshl_or_b32 v14, s8, 7, v93
	v_mov_b32_e32 v15, 0
	s_or_b32 s8, s22, 1
	v_lshl_add_u64 v[14:15], v[14:15], 2, s[48:49]
	v_cndmask_b32_e64 v2, v2, v13, s[0:1]
	s_cmp_ge_i32 s8, s18
	global_store_dword v[14:15], v2, off
	s_barrier
	s_cbranch_scc1 .LBB22_83
; %bb.80:
	ds_read_b32 v1, v10 offset:128
	scratch_load_dwordx4 v[14:17], off, off offset:32
	scratch_load_dwordx4 v[18:21], off, off offset:48
	s_mov_b32 s8, 0x3fb8aa3b
	s_mov_b32 s9, 0x42b17218
	s_waitcnt lgkmcnt(0)
	ds_bpermute_b32 v2, v9, v1
	v_max_f32_e32 v1, v1, v1
	s_waitcnt lgkmcnt(0)
	v_max_f32_e32 v2, v2, v2
	v_max_f32_e32 v1, v1, v2
	ds_bpermute_b32 v2, v5, v1
	s_waitcnt lgkmcnt(0)
	v_max_f32_e32 v2, v2, v2
	v_max_f32_e32 v1, v1, v2
	ds_bpermute_b32 v2, v6, v1
	;; [unrolled: 4-line block ×4, first 2 shown]
	s_waitcnt lgkmcnt(0)
	v_max_f32_e32 v2, v2, v2
	v_max_f32_e32 v1, v1, v2
	v_sub_f32_e32 v2, v91, v1
	v_mul_f32_e32 v10, 0x3fb8aa3b, v2
	v_fma_f32 v13, v2, s8, -v10
	v_rndne_f32_e32 v22, v10
	v_fmamk_f32 v13, v2, 0x32a5705f, v13
	v_sub_f32_e32 v10, v10, v22
	v_add_f32_e32 v10, v10, v13
	v_cvt_i32_f32_e32 v22, v22
	v_exp_f32_e32 v10, v10
	s_mov_b32 s8, 0xc2ce8ed0
	v_cmp_ngt_f32_e32 vcc, s8, v2
	v_mov_b32_e32 v13, 0x7f800000
	v_ldexp_f32 v10, v10, v22
	v_cndmask_b32_e32 v10, 0, v10, vcc
	v_cmp_nlt_f32_e32 vcc, s9, v2
	v_or_b32_e32 v22, 0x80, v12
	s_nop 0
	v_cndmask_b32_e32 v2, v13, v10, vcc
	v_mul_f32_e32 v10, v33, v2
	ds_bpermute_b32 v10, v9, v10
	s_waitcnt lgkmcnt(0)
	v_fmac_f32_e32 v10, v33, v2
	ds_bpermute_b32 v13, v5, v10
	v_cvt_f16_f32_e32 v2, v2
	s_waitcnt lgkmcnt(0)
	v_add_f32_e32 v10, v10, v13
	ds_bpermute_b32 v13, v6, v10
	v_mul_u32_u24_e32 v23, 0x10001, v2
	s_waitcnt lgkmcnt(0)
	v_add_f32_e32 v10, v10, v13
	ds_bpermute_b32 v13, v7, v10
	s_waitcnt vmcnt(1)
	v_pk_mul_f16 v14, v14, v23
	s_waitcnt lgkmcnt(0)
	v_add_f32_e32 v2, v10, v13
	ds_bpermute_b32 v10, v8, v2
	v_pk_mul_f16 v15, v15, v23
	v_pk_mul_f16 v16, v16, v23
	;; [unrolled: 1-line block ×3, first 2 shown]
	s_waitcnt vmcnt(0)
	v_pk_mul_f16 v18, v18, v23
	v_pk_mul_f16 v19, v19, v23
	;; [unrolled: 1-line block ×4, first 2 shown]
	scratch_store_dwordx4 off, v[14:17], off offset:32
	scratch_store_dwordx4 off, v[18:21], off offset:48
	ds_write_b128 v12, v[14:17]
	ds_write_b128 v22, v[18:21]
	s_and_saveexec_b64 s[8:9], s[4:5]
	s_cbranch_execz .LBB22_82
; %bb.81:
	s_waitcnt lgkmcnt(2)
	v_add_f32_e32 v2, v2, v10
	ds_write_b32 v11, v2 offset:128
.LBB22_82:
	s_or_b64 exec, exec, s[8:9]
	s_waitcnt lgkmcnt(0)
	s_barrier
	ds_read_b32 v11, v4 offset:128
	ds_read_u16 v2, v94
	ds_read_u16 v4, v94 offset:256
	ds_read_u16 v10, v94 offset:512
	ds_read_u16 v12, v94 offset:768
	ds_read_u16 v14, v94 offset:1024
	ds_read_u16 v15, v94 offset:1280
	ds_read_u16 v16, v94 offset:1536
	s_waitcnt lgkmcnt(6)
	v_cvt_f32_f16_e32 v2, v2
	s_waitcnt lgkmcnt(5)
	v_cvt_f32_f16_e32 v4, v4
	ds_bpermute_b32 v13, v9, v11
	s_waitcnt lgkmcnt(5)
	v_cvt_f32_f16_e32 v9, v10
	s_waitcnt lgkmcnt(4)
	v_cvt_f32_f16_e32 v10, v12
	v_add_f32_e32 v2, 0, v2
	v_add_f32_e32 v2, v2, v4
	s_waitcnt lgkmcnt(3)
	v_cvt_f32_f16_e32 v4, v14
	v_add_f32_e32 v2, v2, v9
	s_waitcnt lgkmcnt(2)
	v_cvt_f32_f16_e32 v9, v15
	;; [unrolled: 3-line block ×3, first 2 shown]
	ds_read_u16 v12, v94 offset:1792
	ds_read_u16 v14, v94 offset:2048
	ds_read_u16 v15, v94 offset:2304
	ds_read_u16 v16, v94 offset:2560
	ds_read_u16 v17, v94 offset:2816
	ds_read_u16 v18, v94 offset:3072
	ds_read_u16 v19, v94 offset:3328
	ds_read_u16 v20, v94 offset:3584
	s_waitcnt lgkmcnt(7)
	v_cvt_f32_f16_e32 v12, v12
	v_add_f32_e32 v2, v2, v4
	s_waitcnt lgkmcnt(6)
	v_cvt_f32_f16_e32 v4, v14
	v_add_f32_e32 v2, v2, v9
	;; [unrolled: 3-line block ×5, first 2 shown]
	v_add_f32_e32 v2, v2, v9
	v_add_f32_e32 v10, v2, v10
	v_pk_add_f32 v[10:11], v[10:11], v[12:13]
	ds_bpermute_b32 v5, v5, v11
	s_waitcnt lgkmcnt(3)
	v_cvt_f32_f16_e32 v4, v18
	ds_read_u16 v2, v94 offset:3840
	s_add_i32 s10, s10, s19
	s_mul_i32 s2, s2, s10
	s_waitcnt lgkmcnt(1)
	v_pk_add_f32 v[4:5], v[10:11], v[4:5]
	ds_bpermute_b32 v11, v6, v5
	v_cvt_f32_f16_e32 v10, v19
	v_cvt_f32_f16_e32 v6, v20
	s_add_i32 s2, s2, s3
	s_waitcnt lgkmcnt(0)
	v_pk_add_f32 v[4:5], v[4:5], v[10:11]
	ds_bpermute_b32 v7, v7, v5
	s_waitcnt lgkmcnt(0)
	v_pk_add_f32 v[4:5], v[4:5], v[6:7]
	ds_bpermute_b32 v7, v8, v5
	v_cvt_f32_f16_e32 v6, v2
	s_waitcnt lgkmcnt(0)
	v_pk_add_f32 v[32:33], v[4:5], v[6:7]
	s_nop 0
	v_div_scale_f32 v2, s[4:5], v33, v33, v32
	v_rcp_f32_e32 v6, v2
	v_lshl_or_b32 v4, s2, 7, v93
	v_mov_b32_e32 v5, 0
	v_lshl_add_u64 v[4:5], v[4:5], 2, s[48:49]
	v_fma_f32 v7, -v2, v6, 1.0
	v_fmac_f32_e32 v6, v7, v6
	v_div_scale_f32 v7, vcc, v32, v33, v32
	v_mul_f32_e32 v8, v7, v6
	v_fma_f32 v9, -v2, v8, v7
	v_fmac_f32_e32 v8, v9, v6
	v_fma_f32 v2, -v2, v8, v7
	v_div_fmas_f32 v2, v2, v6, v8
	v_div_fixup_f32 v2, v2, v33, v32
	v_cndmask_b32_e64 v2, v32, v2, s[0:1]
	global_store_dword v[4:5], v2, off
	s_branch .LBB22_84
.LBB22_83:
	v_mov_b32_e32 v1, v91
.LBB22_84:
	v_mov_b32_e32 v32, v3
	v_mov_b64_e32 v[90:91], v[0:1]
.LBB22_85:
	s_load_dword s0, s[6:7], 0x4
	v_cmp_gt_u32_e32 vcc, 2, v93
	v_or_b32_e32 v0, s22, v92
	s_waitcnt lgkmcnt(0)
	s_cmp_lg_u32 s0, 1
	s_cselect_b64 s[4:5], -1, 0
	s_and_b64 s[4:5], s[4:5], vcc
	v_cmp_gt_i32_e32 vcc, s18, v0
	s_and_b64 s[4:5], s[4:5], vcc
	s_and_saveexec_b64 s[6:7], s[4:5]
	s_cbranch_execz .LBB22_87
; %bb.86:
	v_add_u32_e32 v0, s33, v0
	v_mul_lo_u32 v0, v0, s19
	v_add_u32_e32 v0, s20, v0
	v_mul_lo_u32 v0, s0, v0
	v_mov_b32_e32 v2, s50
	v_mov_b32_e32 v3, s51
	v_cmp_eq_u32_e32 vcc, 1, v93
	v_add_u32_e32 v0, s3, v0
	v_mov_b32_e32 v1, 0
	v_cndmask_b32_e32 v4, v90, v91, vcc
	v_cndmask_b32_e32 v5, v32, v33, vcc
	v_lshl_add_u64 v[0:1], v[0:1], 3, v[2:3]
	global_store_dwordx2 v[0:1], v[4:5], off
.LBB22_87:
	s_endpgm
	.section	.rodata,"a",@progbits
	.p2align	6, 0x0
	.amdhsa_kernel _ZL18flash_attn_ext_vecILi128ELi2EL9ggml_type3ELS0_30ELb1EEvPKcS2_S2_S2_S2_PKiPfP15HIP_vector_typeIfLj2EEffffjfiS6_IjLj3EEiiiiiiiiiiiliiliiiiil
		.amdhsa_group_segment_fixed_size 4608
		.amdhsa_private_segment_fixed_size 80
		.amdhsa_kernarg_size 464
		.amdhsa_user_sgpr_count 2
		.amdhsa_user_sgpr_dispatch_ptr 0
		.amdhsa_user_sgpr_queue_ptr 0
		.amdhsa_user_sgpr_kernarg_segment_ptr 1
		.amdhsa_user_sgpr_dispatch_id 0
		.amdhsa_user_sgpr_kernarg_preload_length 0
		.amdhsa_user_sgpr_kernarg_preload_offset 0
		.amdhsa_user_sgpr_private_segment_size 0
		.amdhsa_uses_dynamic_stack 0
		.amdhsa_enable_private_segment 1
		.amdhsa_system_sgpr_workgroup_id_x 1
		.amdhsa_system_sgpr_workgroup_id_y 1
		.amdhsa_system_sgpr_workgroup_id_z 1
		.amdhsa_system_sgpr_workgroup_info 0
		.amdhsa_system_vgpr_workitem_id 1
		.amdhsa_next_free_vgpr 132
		.amdhsa_next_free_sgpr 73
		.amdhsa_accum_offset 132
		.amdhsa_reserve_vcc 1
		.amdhsa_float_round_mode_32 0
		.amdhsa_float_round_mode_16_64 0
		.amdhsa_float_denorm_mode_32 3
		.amdhsa_float_denorm_mode_16_64 3
		.amdhsa_dx10_clamp 1
		.amdhsa_ieee_mode 1
		.amdhsa_fp16_overflow 0
		.amdhsa_tg_split 0
		.amdhsa_exception_fp_ieee_invalid_op 0
		.amdhsa_exception_fp_denorm_src 0
		.amdhsa_exception_fp_ieee_div_zero 0
		.amdhsa_exception_fp_ieee_overflow 0
		.amdhsa_exception_fp_ieee_underflow 0
		.amdhsa_exception_fp_ieee_inexact 0
		.amdhsa_exception_int_div_zero 0
	.end_amdhsa_kernel
	.section	.text._ZL18flash_attn_ext_vecILi128ELi2EL9ggml_type3ELS0_30ELb1EEvPKcS2_S2_S2_S2_PKiPfP15HIP_vector_typeIfLj2EEffffjfiS6_IjLj3EEiiiiiiiiiiiliiliiiiil,"axG",@progbits,_ZL18flash_attn_ext_vecILi128ELi2EL9ggml_type3ELS0_30ELb1EEvPKcS2_S2_S2_S2_PKiPfP15HIP_vector_typeIfLj2EEffffjfiS6_IjLj3EEiiiiiiiiiiiliiliiiiil,comdat
.Lfunc_end22:
	.size	_ZL18flash_attn_ext_vecILi128ELi2EL9ggml_type3ELS0_30ELb1EEvPKcS2_S2_S2_S2_PKiPfP15HIP_vector_typeIfLj2EEffffjfiS6_IjLj3EEiiiiiiiiiiiliiliiiiil, .Lfunc_end22-_ZL18flash_attn_ext_vecILi128ELi2EL9ggml_type3ELS0_30ELb1EEvPKcS2_S2_S2_S2_PKiPfP15HIP_vector_typeIfLj2EEffffjfiS6_IjLj3EEiiiiiiiiiiiliiliiiiil
                                        ; -- End function
	.set _ZL18flash_attn_ext_vecILi128ELi2EL9ggml_type3ELS0_30ELb1EEvPKcS2_S2_S2_S2_PKiPfP15HIP_vector_typeIfLj2EEffffjfiS6_IjLj3EEiiiiiiiiiiiliiliiiiil.num_vgpr, 132
	.set _ZL18flash_attn_ext_vecILi128ELi2EL9ggml_type3ELS0_30ELb1EEvPKcS2_S2_S2_S2_PKiPfP15HIP_vector_typeIfLj2EEffffjfiS6_IjLj3EEiiiiiiiiiiiliiliiiiil.num_agpr, 0
	.set _ZL18flash_attn_ext_vecILi128ELi2EL9ggml_type3ELS0_30ELb1EEvPKcS2_S2_S2_S2_PKiPfP15HIP_vector_typeIfLj2EEffffjfiS6_IjLj3EEiiiiiiiiiiiliiliiiiil.numbered_sgpr, 73
	.set _ZL18flash_attn_ext_vecILi128ELi2EL9ggml_type3ELS0_30ELb1EEvPKcS2_S2_S2_S2_PKiPfP15HIP_vector_typeIfLj2EEffffjfiS6_IjLj3EEiiiiiiiiiiiliiliiiiil.num_named_barrier, 0
	.set _ZL18flash_attn_ext_vecILi128ELi2EL9ggml_type3ELS0_30ELb1EEvPKcS2_S2_S2_S2_PKiPfP15HIP_vector_typeIfLj2EEffffjfiS6_IjLj3EEiiiiiiiiiiiliiliiiiil.private_seg_size, 80
	.set _ZL18flash_attn_ext_vecILi128ELi2EL9ggml_type3ELS0_30ELb1EEvPKcS2_S2_S2_S2_PKiPfP15HIP_vector_typeIfLj2EEffffjfiS6_IjLj3EEiiiiiiiiiiiliiliiiiil.uses_vcc, 1
	.set _ZL18flash_attn_ext_vecILi128ELi2EL9ggml_type3ELS0_30ELb1EEvPKcS2_S2_S2_S2_PKiPfP15HIP_vector_typeIfLj2EEffffjfiS6_IjLj3EEiiiiiiiiiiiliiliiiiil.uses_flat_scratch, 0
	.set _ZL18flash_attn_ext_vecILi128ELi2EL9ggml_type3ELS0_30ELb1EEvPKcS2_S2_S2_S2_PKiPfP15HIP_vector_typeIfLj2EEffffjfiS6_IjLj3EEiiiiiiiiiiiliiliiiiil.has_dyn_sized_stack, 0
	.set _ZL18flash_attn_ext_vecILi128ELi2EL9ggml_type3ELS0_30ELb1EEvPKcS2_S2_S2_S2_PKiPfP15HIP_vector_typeIfLj2EEffffjfiS6_IjLj3EEiiiiiiiiiiiliiliiiiil.has_recursion, 0
	.set _ZL18flash_attn_ext_vecILi128ELi2EL9ggml_type3ELS0_30ELb1EEvPKcS2_S2_S2_S2_PKiPfP15HIP_vector_typeIfLj2EEffffjfiS6_IjLj3EEiiiiiiiiiiiliiliiiiil.has_indirect_call, 0
	.section	.AMDGPU.csdata,"",@progbits
; Kernel info:
; codeLenInByte = 15952
; TotalNumSgprs: 79
; NumVgprs: 132
; NumAgprs: 0
; TotalNumVgprs: 132
; ScratchSize: 80
; MemoryBound: 0
; FloatMode: 240
; IeeeMode: 1
; LDSByteSize: 4608 bytes/workgroup (compile time only)
; SGPRBlocks: 9
; VGPRBlocks: 16
; NumSGPRsForWavesPerEU: 79
; NumVGPRsForWavesPerEU: 132
; AccumOffset: 132
; Occupancy: 3
; WaveLimiterHint : 0
; COMPUTE_PGM_RSRC2:SCRATCH_EN: 1
; COMPUTE_PGM_RSRC2:USER_SGPR: 2
; COMPUTE_PGM_RSRC2:TRAP_HANDLER: 0
; COMPUTE_PGM_RSRC2:TGID_X_EN: 1
; COMPUTE_PGM_RSRC2:TGID_Y_EN: 1
; COMPUTE_PGM_RSRC2:TGID_Z_EN: 1
; COMPUTE_PGM_RSRC2:TIDIG_COMP_CNT: 1
; COMPUTE_PGM_RSRC3_GFX90A:ACCUM_OFFSET: 32
; COMPUTE_PGM_RSRC3_GFX90A:TG_SPLIT: 0
	.section	.text._ZL18flash_attn_ext_vecILi256ELi1EL9ggml_type3ELS0_30ELb0EEvPKcS2_S2_S2_S2_PKiPfP15HIP_vector_typeIfLj2EEffffjfiS6_IjLj3EEiiiiiiiiiiiliiliiiiil,"axG",@progbits,_ZL18flash_attn_ext_vecILi256ELi1EL9ggml_type3ELS0_30ELb0EEvPKcS2_S2_S2_S2_PKiPfP15HIP_vector_typeIfLj2EEffffjfiS6_IjLj3EEiiiiiiiiiiiliiliiiiil,comdat
	.globl	_ZL18flash_attn_ext_vecILi256ELi1EL9ggml_type3ELS0_30ELb0EEvPKcS2_S2_S2_S2_PKiPfP15HIP_vector_typeIfLj2EEffffjfiS6_IjLj3EEiiiiiiiiiiiliiliiiiil ; -- Begin function _ZL18flash_attn_ext_vecILi256ELi1EL9ggml_type3ELS0_30ELb0EEvPKcS2_S2_S2_S2_PKiPfP15HIP_vector_typeIfLj2EEffffjfiS6_IjLj3EEiiiiiiiiiiiliiliiiiil
	.p2align	8
	.type	_ZL18flash_attn_ext_vecILi256ELi1EL9ggml_type3ELS0_30ELb0EEvPKcS2_S2_S2_S2_PKiPfP15HIP_vector_typeIfLj2EEffffjfiS6_IjLj3EEiiiiiiiiiiiliiliiiiil,@function
_ZL18flash_attn_ext_vecILi256ELi1EL9ggml_type3ELS0_30ELb0EEvPKcS2_S2_S2_S2_PKiPfP15HIP_vector_typeIfLj2EEffffjfiS6_IjLj3EEiiiiiiiiiiiliiliiiiil: ; @_ZL18flash_attn_ext_vecILi256ELi1EL9ggml_type3ELS0_30ELb0EEvPKcS2_S2_S2_S2_PKiPfP15HIP_vector_typeIfLj2EEffffjfiS6_IjLj3EEiiiiiiiiiiiliiliiiiil
; %bb.0:
	s_load_dwordx2 s[34:35], s[0:1], 0x64
	s_load_dwordx2 s[42:43], s[0:1], 0x80
	;; [unrolled: 1-line block ×3, first 2 shown]
	s_load_dwordx4 s[8:11], s[0:1], 0x40
	v_mov_b32_e32 v71, 1.0
	s_waitcnt lgkmcnt(0)
	v_cvt_f32_u32_e32 v1, s35
	s_sub_i32 s5, 0, s35
	v_rcp_iflag_f32_e32 v1, v1
	s_nop 0
	v_mul_f32_e32 v1, 0x4f7ffffe, v1
	v_cvt_u32_f32_e32 v1, v1
	s_nop 0
	v_readfirstlane_b32 s6, v1
	s_mul_i32 s5, s5, s6
	s_mul_hi_u32 s5, s6, s5
	s_add_i32 s6, s6, s5
	s_mul_hi_u32 s5, s4, s6
	s_mul_i32 s6, s5, s35
	s_sub_i32 s6, s4, s6
	s_add_i32 s7, s5, 1
	s_sub_i32 s14, s6, s35
	s_cmp_ge_u32 s6, s35
	s_cselect_b32 s5, s7, s5
	s_cselect_b32 s6, s14, s6
	s_add_i32 s7, s5, 1
	s_cmp_ge_u32 s6, s35
	s_cselect_b32 s33, s7, s5
	s_abs_i32 s6, s43
	v_cvt_f32_u32_e32 v1, s6
	s_mul_i32 s15, s33, s35
	s_sub_i32 s16, 0, s6
	s_sub_i32 s40, s4, s15
	v_rcp_iflag_f32_e32 v1, v1
	s_abs_i32 s14, s35
	s_xor_b32 s7, s35, s43
	s_ashr_i32 s7, s7, 31
	v_mul_f32_e32 v1, 0x4f7ffffe, v1
	v_cvt_u32_f32_e32 v1, v1
	s_load_dword s5, s[0:1], 0x50
	s_mov_b32 s36, s8
	s_mov_b32 s37, s9
	v_readfirstlane_b32 s4, v1
	s_mul_i32 s16, s16, s4
	s_mul_hi_u32 s15, s4, s16
	s_add_i32 s4, s4, s15
	s_mul_hi_u32 s4, s14, s4
	s_mul_i32 s15, s4, s6
	s_sub_i32 s14, s14, s15
	s_add_i32 s16, s4, 1
	s_sub_i32 s15, s14, s6
	s_cmp_ge_u32 s14, s6
	s_cselect_b32 s4, s16, s4
	s_cselect_b32 s14, s15, s14
	s_add_i32 s15, s4, 1
	s_cmp_ge_u32 s14, s6
	s_cselect_b32 s4, s15, s4
	s_xor_b32 s4, s4, s7
	s_sub_i32 s38, s4, s7
	s_abs_i32 s46, s38
	v_cvt_f32_u32_e32 v1, s46
	s_abs_i32 s12, s12
	v_cvt_f32_u32_e32 v2, s12
	s_sub_i32 s6, 0, s46
	v_rcp_iflag_f32_e32 v1, v1
	s_sub_i32 s4, 0, s12
	v_rcp_iflag_f32_e32 v2, v2
	s_abs_i32 s47, s40
	v_mul_f32_e32 v1, 0x4f7ffffe, v1
	v_cvt_u32_f32_e32 v1, v1
	v_mul_f32_e32 v2, 0x4f7ffffe, v2
	v_cvt_u32_f32_e32 v2, v2
	s_abs_i32 s43, s33
	v_readfirstlane_b32 s14, v1
	s_mul_i32 s6, s6, s14
	v_readfirstlane_b32 s15, v2
	s_mul_hi_u32 s6, s14, s6
	s_mul_i32 s4, s4, s15
	s_add_i32 s14, s14, s6
	s_mul_hi_u32 s4, s15, s4
	v_cmp_le_f32_e64 s[6:7], s9, 0
	s_add_i32 s15, s15, s4
	s_and_b64 vcc, exec, s[6:7]
	s_cbranch_vccnz .LBB23_2
; %bb.1:
	s_waitcnt lgkmcnt(0)
	v_mov_b32_e32 v1, s5
	v_sub_co_u32_e32 v1, vcc, s40, v1
	v_mov_b32_e32 v2, s11
	v_mov_b32_e32 v3, s10
	s_add_i32 s4, s40, 1
	v_lshlrev_b32_e32 v1, 1, v1
	v_cndmask_b32_e32 v2, v2, v3, vcc
	v_or_b32_e32 v1, 1, v1
	v_mov_b32_e32 v3, s4
	v_cndmask_b32_e32 v1, v1, v3, vcc
	v_cvt_f32_i32_e32 v1, v1
	v_cmp_neq_f32_e32 vcc, 1.0, v2
	s_mov_b32 s4, 0x3f2aaaab
	s_movk_i32 s6, 0x204
	v_cndmask_b32_e32 v1, 1.0, v1, vcc
	v_cmp_neq_f32_e32 vcc, 0, v1
	s_mov_b32 s5, 0x42b17218
	s_mov_b32 s7, 0x3fb8aa3b
	v_cndmask_b32_e32 v18, 1.0, v2, vcc
	v_frexp_mant_f32_e64 v2, |v18|
	v_cmp_gt_f32_e32 vcc, s4, v2
	s_mov_b32 s4, 0x3f317218
	s_brev_b32 s9, -2
	v_cndmask_b32_e64 v3, 1.0, 2.0, vcc
	v_mul_f32_e32 v2, v2, v3
	v_add_f32_e32 v5, 1.0, v2
	v_rcp_f32_e32 v10, v5
	v_add_f32_e32 v3, -1.0, v5
	v_sub_f32_e32 v7, v2, v3
	v_add_f32_e32 v3, -1.0, v2
	v_mul_f32_e32 v11, v3, v10
	v_mul_f32_e32 v4, v5, v11
	v_fma_f32 v6, v11, v5, -v4
	v_fmac_f32_e32 v6, v11, v7
	v_add_f32_e32 v2, v4, v6
	v_sub_f32_e32 v5, v3, v2
	v_pk_add_f32 v[8:9], v[2:3], v[4:5] neg_lo:[0,1] neg_hi:[0,1]
	v_mov_b32_e32 v7, v2
	v_pk_add_f32 v[2:3], v[8:9], v[6:7] neg_lo:[0,1] neg_hi:[0,1]
	v_mov_b32_e32 v6, 0x3e91f4c4
	v_add_f32_e32 v2, v2, v3
	v_add_f32_e32 v2, v5, v2
	v_mul_f32_e32 v3, v10, v2
	v_add_f32_e32 v2, v11, v3
	v_sub_f32_e32 v4, v2, v11
	v_sub_f32_e32 v12, v3, v4
	v_mul_f32_e32 v3, v2, v2
	v_fma_f32 v5, v2, v2, -v3
	v_add_f32_e32 v4, v12, v12
	v_fmac_f32_e32 v5, v2, v4
	v_add_f32_e32 v4, v3, v5
	v_fmac_f32_e32 v6, 0x3e76c4e1, v4
	v_fmaak_f32 v6, v4, v6, 0x3ecccdef
	v_sub_f32_e32 v3, v4, v3
	v_sub_f32_e32 v13, v5, v3
	v_mul_f32_e32 v3, v4, v6
	v_fma_f32 v5, v4, v6, -v3
	v_fmac_f32_e32 v5, v13, v6
	v_add_f32_e32 v6, v3, v5
	v_add_f32_e32 v7, 0x3f2aaaaa, v6
	v_sub_f32_e32 v3, v6, v3
	v_sub_f32_e32 v3, v5, v3
	v_add_f32_e32 v5, 0xbf2aaaaa, v7
	v_add_f32_e32 v3, 0x31739010, v3
	v_sub_f32_e32 v5, v6, v5
	v_pk_mul_f32 v[8:9], v[2:3], v[4:5]
	v_pk_add_f32 v[10:11], v[2:3], v[4:5]
	v_fma_f32 v6, v4, v2, -v8
	v_fmac_f32_e32 v6, v4, v12
	v_mov_b32_e32 v9, v11
	v_fmac_f32_e32 v6, v13, v2
	v_pk_add_f32 v[4:5], v[8:9], v[6:7]
	v_ldexp_f32 v14, v12, 1
	v_sub_f32_e32 v3, v4, v8
	v_sub_f32_e32 v3, v6, v3
	v_sub_f32_e32 v6, v7, v5
	v_add_f32_e32 v9, v11, v6
	v_pk_mul_f32 v[6:7], v[4:5], v[4:5] op_sel:[0,1] op_sel_hi:[1,0]
	v_cvt_f64_f32_e64 v[10:11], |v18|
	v_frexp_exp_i32_f64_e32 v7, v[10:11]
	v_subbrev_co_u32_e32 v7, vcc, 0, v7, vcc
	v_cvt_f32_i32_e32 v7, v7
	v_fma_f32 v8, v4, v5, -v6
	v_fmac_f32_e32 v8, v4, v9
	v_fmac_f32_e32 v8, v3, v5
	v_mul_f32_e32 v4, 0x3f317218, v7
	v_fma_f32 v3, v7, s4, -v4
	v_fmamk_f32 v10, v7, 0xb102e308, v3
	v_ldexp_f32 v11, v2, 1
	v_add_f32_e32 v5, v6, v8
	v_pk_add_f32 v[2:3], v[4:5], v[10:11]
	v_mov_b32_e32 v12, v5
	v_mov_b32_e32 v13, v3
	;; [unrolled: 1-line block ×3, first 2 shown]
	v_pk_add_f32 v[6:7], v[12:13], v[6:7] neg_lo:[0,1] neg_hi:[0,1]
	v_mov_b32_e32 v9, v5
	v_pk_add_f32 v[6:7], v[8:9], v[6:7] neg_lo:[0,1] neg_hi:[0,1]
	v_mov_b32_e32 v11, v2
	v_add_f32_e32 v5, v14, v6
	v_add_f32_e32 v5, v5, v7
	v_pk_add_f32 v[6:7], v[2:3], v[4:5] neg_lo:[0,1] neg_hi:[0,1]
	v_pk_add_f32 v[8:9], v[2:3], v[4:5]
	v_mov_b32_e32 v16, v3
	v_mov_b32_e32 v7, v9
	v_pk_add_f32 v[12:13], v[10:11], v[6:7] neg_lo:[0,1] neg_hi:[0,1]
	v_pk_add_f32 v[6:7], v[10:11], v[6:7]
	v_mov_b32_e32 v4, v5
	v_pk_add_f32 v[10:11], v[6:7], v[2:3] op_sel:[1,0] op_sel_hi:[0,1] neg_lo:[0,1] neg_hi:[0,1]
	v_pk_add_f32 v[14:15], v[8:9], v[10:11] op_sel_hi:[1,0] neg_lo:[0,1] neg_hi:[0,1]
	v_mov_b32_e32 v8, v9
	v_mov_b32_e32 v9, v7
	;; [unrolled: 1-line block ×3, first 2 shown]
	v_pk_add_f32 v[8:9], v[8:9], v[16:17] neg_lo:[0,1] neg_hi:[0,1]
	v_mov_b32_e32 v5, v2
	v_pk_add_f32 v[2:3], v[4:5], v[8:9] neg_lo:[0,1] neg_hi:[0,1]
	v_mov_b32_e32 v14, v12
	v_pk_add_f32 v[4:5], v[14:15], v[2:3]
	v_mov_b32_e32 v13, v7
	v_pk_add_f32 v[8:9], v[4:5], v[4:5] op_sel:[0,1] op_sel_hi:[1,0]
	s_mov_b32 s4, 0x7f800000
	v_pk_add_f32 v[6:7], v[6:7], v[8:9] op_sel:[1,0] op_sel_hi:[0,1]
	v_mov_b32_e32 v5, v6
	v_pk_add_f32 v[10:11], v[4:5], v[12:13] neg_lo:[0,1] neg_hi:[0,1]
	v_mov_b32_e32 v3, v8
	v_sub_f32_e32 v4, v4, v10
	v_pk_add_f32 v[2:3], v[2:3], v[10:11] neg_lo:[0,1] neg_hi:[0,1]
	v_sub_f32_e32 v4, v12, v4
	v_add_f32_e32 v2, v2, v4
	v_add_f32_e32 v2, v2, v3
	;; [unrolled: 1-line block ×3, first 2 shown]
	v_sub_f32_e32 v4, v3, v6
	v_sub_f32_e32 v2, v2, v4
	v_mul_f32_e32 v4, v1, v3
	v_fma_f32 v3, v1, v3, -v4
	v_fmac_f32_e32 v3, v1, v2
	v_add_f32_e32 v2, v4, v3
	v_cmp_class_f32_e64 vcc, v4, s6
	v_sub_f32_e32 v5, v2, v4
	v_sub_f32_e32 v3, v3, v5
	v_cndmask_b32_e32 v2, v2, v4, vcc
	v_mov_b32_e32 v4, 0x37000000
	v_cmp_eq_f32_e32 vcc, s5, v2
	v_cmp_class_f32_e64 s[10:11], v18, s6
	s_nop 0
	v_cndmask_b32_e32 v4, 0, v4, vcc
	v_sub_f32_e32 v5, v2, v4
	v_mul_f32_e32 v6, 0x3fb8aa3b, v5
	v_fma_f32 v7, v5, s7, -v6
	v_rndne_f32_e32 v8, v6
	v_fmamk_f32 v7, v5, 0x32a5705f, v7
	v_sub_f32_e32 v6, v6, v8
	v_add_f32_e32 v6, v6, v7
	v_exp_f32_e32 v6, v6
	v_cvt_i32_f32_e32 v7, v8
	v_cmp_neq_f32_e64 vcc, |v2|, s4
	s_mov_b32 s4, 0xc2ce8ed0
	s_nop 0
	v_cndmask_b32_e32 v2, 0, v3, vcc
	v_ldexp_f32 v3, v6, v7
	v_cmp_ngt_f32_e32 vcc, s4, v5
	v_add_f32_e32 v2, v4, v2
	v_mov_b32_e32 v4, 0x7f800000
	v_cndmask_b32_e32 v3, 0, v3, vcc
	v_cmp_nlt_f32_e32 vcc, s5, v5
	v_mov_b32_e32 v5, 0x7fc00000
	s_nop 0
	v_cndmask_b32_e32 v3, v4, v3, vcc
	v_fma_f32 v2, v3, v2, v3
	v_cmp_class_f32_e64 vcc, v3, s6
	v_cmp_gt_f32_e64 s[6:7], 0, v1
	s_nop 0
	v_cndmask_b32_e32 v2, v2, v3, vcc
	v_trunc_f32_e32 v3, v1
	v_cmp_eq_f32_e32 vcc, v3, v1
	v_mul_f32_e32 v3, 0.5, v1
	v_trunc_f32_e32 v6, v3
	v_cmp_neq_f32_e64 s[4:5], v6, v3
	s_and_b64 s[4:5], vcc, s[4:5]
	s_nop 0
	v_cndmask_b32_e64 v3, 1.0, v18, s[4:5]
	v_bfi_b32 v2, s9, v2, v3
	v_cndmask_b32_e32 v3, v5, v2, vcc
	v_cmp_gt_f32_e32 vcc, 0, v18
	s_nop 1
	v_cndmask_b32_e32 v2, v2, v3, vcc
	v_cmp_eq_f32_e32 vcc, 0, v18
	s_xor_b64 s[6:7], s[6:7], vcc
	v_cndmask_b32_e64 v1, v4, 0, s[6:7]
	v_cndmask_b32_e64 v3, 0, v18, s[4:5]
	v_bfi_b32 v1, s9, v1, v3
	s_or_b64 vcc, vcc, s[10:11]
	v_cndmask_b32_e32 v1, v2, v1, vcc
	v_cmp_o_f32_e32 vcc, v18, v18
	s_nop 1
	v_cndmask_b32_e32 v71, v5, v1, vcc
.LBB23_2:
	s_load_dwordx16 s[16:31], s[0:1], 0x0
	v_bfe_u32 v35, v0, 10, 10
	v_and_b32_e32 v68, 0x3ff, v0
	s_mul_hi_u32 s49, s47, s14
	s_mul_hi_u32 s48, s43, s15
	v_cmp_eq_u32_e64 s[14:15], 0, v35
	v_lshlrev_b32_e32 v16, 4, v68
	v_mbcnt_lo_u32_b32 v69, -1, 0
	s_and_saveexec_b64 s[6:7], s[14:15]
	s_cbranch_execz .LBB23_11
; %bb.3:
	s_load_dwordx4 s[52:55], s[0:1], 0x70
	v_mbcnt_hi_u32_b32 v2, -1, v69
	v_and_b32_e32 v0, 0x60, v2
	v_xor_b32_e32 v1, 4, v2
	v_add_u32_e32 v8, 32, v0
	s_waitcnt lgkmcnt(0)
	s_mul_i32 s4, s33, s54
	s_mul_i32 s9, s52, s2
	;; [unrolled: 1-line block ×3, first 2 shown]
	s_add_i32 s4, s4, s9
	s_add_i32 s4, s4, s5
	s_ashr_i32 s5, s4, 31
	s_add_u32 s4, s16, s4
	s_addc_u32 s5, s17, s5
	global_load_dwordx4 v[10:13], v16, s[4:5]
	v_xor_b32_e32 v3, 2, v2
	v_cmp_lt_i32_e32 vcc, v1, v8
	v_xor_b32_e32 v6, 1, v2
	s_mov_b32 s16, 0x42fe0000
	v_cndmask_b32_e32 v0, v2, v1, vcc
	v_cmp_lt_i32_e32 vcc, v3, v8
	v_lshlrev_b32_e32 v5, 2, v0
	v_mov_b32_e32 v17, 0
	v_cndmask_b32_e32 v1, v2, v3, vcc
	v_lshlrev_b32_e32 v4, 2, v1
	v_cmp_lt_i32_e32 vcc, v6, v8
	s_mov_b32 s9, s8
	s_waitcnt vmcnt(0)
	v_mov_b32_e32 v0, v13
	v_mov_b32_e32 v1, v11
	v_mul_f32_e32 v9, s8, v10
	v_pk_mul_f32 v[0:1], s[36:37], v[0:1] op_sel_hi:[0,1]
	v_mul_f32_e32 v7, s8, v12
	v_max_f32_e64 v3, |v9|, |v1|
	v_max3_f32 v3, v3, |v7|, |v0|
	ds_bpermute_b32 v11, v5, v3
	v_fma_f32 v10, s8, v10, v1
	v_fmac_f32_e32 v10, s8, v12
	v_add_f32_e32 v10, v10, v0
	ds_bpermute_b32 v12, v5, v10
	s_waitcnt lgkmcnt(1)
	v_max_f32_e32 v11, v11, v11
	v_max_f32_e32 v3, v3, v11
	ds_bpermute_b32 v11, v4, v3
	v_cndmask_b32_e32 v2, v2, v6, vcc
	v_lshlrev_b32_e32 v6, 2, v2
	s_waitcnt lgkmcnt(1)
	v_add_f32_e32 v2, v10, v12
	ds_bpermute_b32 v8, v4, v2
	s_waitcnt lgkmcnt(1)
	v_max_f32_e32 v10, v11, v11
	v_max_f32_e32 v10, v3, v10
	ds_bpermute_b32 v11, v6, v10
	s_waitcnt lgkmcnt(1)
	v_add_f32_e32 v3, v2, v8
	ds_bpermute_b32 v8, v6, v3
	s_waitcnt lgkmcnt(1)
	v_max_f32_e32 v2, v11, v11
	v_max_f32_e32 v2, v10, v2
	v_div_scale_f32 v10, s[10:11], s16, s16, v2
	v_rcp_f32_e32 v11, v10
	v_div_scale_f32 v12, vcc, v2, s16, v2
	v_fma_f32 v13, -v10, v11, 1.0
	v_fmac_f32_e32 v11, v13, v11
	v_mul_f32_e32 v13, v12, v11
	v_fma_f32 v14, -v10, v13, v12
	v_fmac_f32_e32 v13, v14, v11
	v_fma_f32 v10, -v10, v13, v12
	v_div_fmas_f32 v10, v10, v11, v13
	v_div_fixup_f32 v2, v10, s16, v2
	v_cmp_neq_f32_e32 vcc, 0, v2
	v_mov_b32_e32 v10, v17
	s_and_saveexec_b64 s[10:11], vcc
	s_cbranch_execz .LBB23_5
; %bb.4:
	v_div_scale_f32 v10, s[16:17], v2, v2, v9
	v_rcp_f32_e32 v11, v10
	v_div_scale_f32 v12, vcc, v9, v2, v9
	s_brev_b32 s36, -2
	v_fma_f32 v13, -v10, v11, 1.0
	v_fmac_f32_e32 v11, v13, v11
	v_mul_f32_e32 v13, v12, v11
	v_fma_f32 v14, -v10, v13, v12
	v_fmac_f32_e32 v13, v14, v11
	v_fma_f32 v10, -v10, v13, v12
	v_div_fmas_f32 v10, v10, v11, v13
	v_div_fixup_f32 v9, v10, v2, v9
	v_trunc_f32_e32 v10, v9
	v_sub_f32_e32 v11, v9, v10
	v_cmp_ge_f32_e64 s[16:17], |v11|, 0.5
	s_nop 1
	v_cndmask_b32_e64 v11, 0, 1.0, s[16:17]
	v_div_scale_f32 v12, s[16:17], v2, v2, v0
	v_rcp_f32_e32 v13, v12
	v_bfi_b32 v9, s36, v11, v9
	v_add_f32_e32 v9, v10, v9
	v_cvt_i32_f32_e32 v9, v9
	v_fma_f32 v10, -v12, v13, 1.0
	v_fmac_f32_e32 v13, v10, v13
	v_div_scale_f32 v10, vcc, v0, v2, v0
	v_mul_f32_e32 v11, v10, v13
	v_fma_f32 v14, -v12, v11, v10
	v_fmac_f32_e32 v11, v14, v13
	v_div_scale_f32 v14, s[16:17], v2, v2, v1
	v_rcp_f32_e32 v15, v14
	v_fma_f32 v10, -v12, v11, v10
	v_div_fmas_f32 v10, v10, v13, v11
	v_div_fixup_f32 v0, v10, v2, v0
	v_fma_f32 v11, -v14, v15, 1.0
	v_fmac_f32_e32 v15, v11, v15
	v_div_scale_f32 v11, vcc, v1, v2, v1
	v_mul_f32_e32 v12, v11, v15
	v_fma_f32 v13, -v14, v12, v11
	v_fmac_f32_e32 v12, v13, v15
	v_div_scale_f32 v13, s[16:17], v2, v2, v7
	v_rcp_f32_e32 v18, v13
	v_fma_f32 v11, -v14, v12, v11
	v_div_fmas_f32 v11, v11, v15, v12
	v_div_fixup_f32 v1, v11, v2, v1
	v_fma_f32 v12, -v13, v18, 1.0
	v_fmac_f32_e32 v18, v12, v18
	v_div_scale_f32 v12, vcc, v7, v2, v7
	v_mul_f32_e32 v14, v12, v18
	v_fma_f32 v15, -v13, v14, v12
	v_fmac_f32_e32 v14, v15, v18
	v_fma_f32 v12, -v13, v14, v12
	v_div_fmas_f32 v12, v12, v18, v14
	v_div_fixup_f32 v7, v12, v2, v7
	v_trunc_f32_e32 v12, v7
	v_sub_f32_e32 v13, v7, v12
	v_trunc_f32_e32 v10, v1
	v_cmp_ge_f32_e64 s[16:17], |v13|, 0.5
	v_sub_f32_e32 v11, v1, v10
	s_nop 0
	v_cndmask_b32_e64 v13, 0, 1.0, s[16:17]
	v_cmp_ge_f32_e64 s[16:17], |v11|, 0.5
	v_bfi_b32 v7, s36, v13, v7
	v_add_f32_e32 v7, v12, v7
	v_cndmask_b32_e64 v11, 0, 1.0, s[16:17]
	v_bfi_b32 v1, s36, v11, v1
	v_add_f32_e32 v1, v10, v1
	v_trunc_f32_e32 v10, v0
	v_sub_f32_e32 v11, v0, v10
	v_cmp_ge_f32_e64 s[16:17], |v11|, 0.5
	v_cvt_i32_f32_e32 v7, v7
	v_cvt_i32_f32_e32 v1, v1
	v_cndmask_b32_e64 v11, 0, 1.0, s[16:17]
	v_bfi_b32 v0, s36, v11, v0
	v_add_f32_e32 v0, v10, v0
	v_cvt_i32_f32_e32 v0, v0
	v_and_b32_e32 v7, 0xff, v7
	v_lshlrev_b32_e32 v7, 16, v7
	v_mov_b32_e32 v10, 8
	v_lshlrev_b32_sdwa v1, v10, v1 dst_sel:DWORD dst_unused:UNUSED_PAD src0_sel:DWORD src1_sel:BYTE_0
	v_lshl_or_b32 v0, v0, 24, v7
	v_and_b32_e32 v7, 0xff, v9
	v_or3_b32 v10, v0, v1, v7
.LBB23_5:
	s_or_b64 exec, exec, s[10:11]
	v_and_b32_e32 v9, 7, v68
	v_lshl_add_u64 v[0:1], s[4:5], 0, v[16:17]
	v_lshlrev_b32_e32 v7, 2, v68
	v_cmp_eq_u32_e64 s[4:5], 0, v9
	ds_write_b32 v7, v10
	s_and_saveexec_b64 s[10:11], s[4:5]
	s_cbranch_execz .LBB23_7
; %bb.6:
	s_waitcnt lgkmcnt(1)
	v_add_f32_e32 v3, v3, v8
	ds_write_b64 v68, v[2:3] offset:256
.LBB23_7:
	s_or_b64 exec, exec, s[10:11]
	global_load_dwordx4 v[10:13], v[0:1], off offset:512
	s_mov_b32 s10, 0x42fe0000
	s_waitcnt vmcnt(0)
	v_mov_b32_e32 v0, v13
	v_mov_b32_e32 v1, v11
	v_mul_f32_e32 v9, s8, v10
	v_pk_mul_f32 v[0:1], s[8:9], v[0:1]
	s_waitcnt lgkmcnt(1)
	v_mul_f32_e32 v8, s8, v12
	v_max_f32_e64 v2, |v9|, |v1|
	v_max3_f32 v2, v2, |v8|, |v0|
	ds_bpermute_b32 v3, v5, v2
	v_fma_f32 v10, s8, v10, v1
	v_fmac_f32_e32 v10, s8, v12
	v_add_f32_e32 v10, v10, v0
	ds_bpermute_b32 v5, v5, v10
	s_waitcnt lgkmcnt(1)
	v_max_f32_e32 v3, v3, v3
	v_max_f32_e32 v2, v2, v3
	ds_bpermute_b32 v3, v4, v2
	s_waitcnt lgkmcnt(1)
	v_add_f32_e32 v5, v10, v5
	ds_bpermute_b32 v4, v4, v5
	s_waitcnt lgkmcnt(1)
	v_max_f32_e32 v3, v3, v3
	v_max_f32_e32 v2, v2, v3
	ds_bpermute_b32 v10, v6, v2
	s_waitcnt lgkmcnt(1)
	v_add_f32_e32 v3, v5, v4
	s_waitcnt lgkmcnt(0)
	v_max_f32_e32 v4, v10, v10
	v_max_f32_e32 v2, v2, v4
	v_div_scale_f32 v5, s[8:9], s10, s10, v2
	v_rcp_f32_e32 v10, v5
	ds_bpermute_b32 v4, v6, v3
	v_div_scale_f32 v6, vcc, v2, s10, v2
	v_fma_f32 v11, -v5, v10, 1.0
	v_fmac_f32_e32 v10, v11, v10
	v_mul_f32_e32 v11, v6, v10
	v_fma_f32 v12, -v5, v11, v6
	v_fmac_f32_e32 v11, v12, v10
	v_fma_f32 v5, -v5, v11, v6
	v_div_fmas_f32 v5, v5, v10, v11
	v_div_fixup_f32 v2, v5, s10, v2
	v_cmp_neq_f32_e32 vcc, 0, v2
	v_mov_b32_e32 v5, 0
	s_and_saveexec_b64 s[8:9], vcc
	s_cbranch_execz .LBB23_9
; %bb.8:
	v_div_scale_f32 v5, s[10:11], v2, v2, v9
	v_rcp_f32_e32 v6, v5
	v_div_scale_f32 v10, vcc, v9, v2, v9
	s_brev_b32 s16, -2
	v_fma_f32 v11, -v5, v6, 1.0
	v_fmac_f32_e32 v6, v11, v6
	v_mul_f32_e32 v11, v10, v6
	v_fma_f32 v12, -v5, v11, v10
	v_fmac_f32_e32 v11, v12, v6
	v_fma_f32 v5, -v5, v11, v10
	v_div_fmas_f32 v5, v5, v6, v11
	v_div_fixup_f32 v5, v5, v2, v9
	v_trunc_f32_e32 v6, v5
	v_sub_f32_e32 v9, v5, v6
	v_cmp_ge_f32_e64 s[10:11], |v9|, 0.5
	s_nop 1
	v_cndmask_b32_e64 v9, 0, 1.0, s[10:11]
	v_div_scale_f32 v10, s[10:11], v2, v2, v0
	v_rcp_f32_e32 v11, v10
	v_bfi_b32 v5, s16, v9, v5
	v_add_f32_e32 v5, v6, v5
	v_cvt_i32_f32_e32 v5, v5
	v_fma_f32 v6, -v10, v11, 1.0
	v_fmac_f32_e32 v11, v6, v11
	v_div_scale_f32 v6, vcc, v0, v2, v0
	v_mul_f32_e32 v9, v6, v11
	v_fma_f32 v12, -v10, v9, v6
	v_fmac_f32_e32 v9, v12, v11
	v_div_scale_f32 v12, s[10:11], v2, v2, v1
	v_rcp_f32_e32 v13, v12
	v_fma_f32 v6, -v10, v9, v6
	v_div_fmas_f32 v6, v6, v11, v9
	v_div_fixup_f32 v0, v6, v2, v0
	v_fma_f32 v9, -v12, v13, 1.0
	v_fmac_f32_e32 v13, v9, v13
	v_div_scale_f32 v9, vcc, v1, v2, v1
	v_mul_f32_e32 v10, v9, v13
	v_fma_f32 v11, -v12, v10, v9
	v_fmac_f32_e32 v10, v11, v13
	v_div_scale_f32 v11, s[10:11], v2, v2, v8
	v_rcp_f32_e32 v14, v11
	v_fma_f32 v9, -v12, v10, v9
	v_div_fmas_f32 v9, v9, v13, v10
	v_div_fixup_f32 v1, v9, v2, v1
	v_fma_f32 v10, -v11, v14, 1.0
	v_fmac_f32_e32 v14, v10, v14
	v_div_scale_f32 v10, vcc, v8, v2, v8
	v_mul_f32_e32 v12, v10, v14
	v_fma_f32 v13, -v11, v12, v10
	v_fmac_f32_e32 v12, v13, v14
	v_fma_f32 v10, -v11, v12, v10
	v_div_fmas_f32 v10, v10, v14, v12
	v_div_fixup_f32 v8, v10, v2, v8
	v_trunc_f32_e32 v10, v8
	v_sub_f32_e32 v11, v8, v10
	v_cmp_ge_f32_e64 s[10:11], |v11|, 0.5
	v_and_b32_e32 v5, 0xff, v5
	s_nop 0
	v_cndmask_b32_e64 v11, 0, 1.0, s[10:11]
	v_bfi_b32 v8, s16, v11, v8
	v_add_f32_e32 v8, v10, v8
	v_cvt_i32_f32_e32 v8, v8
	v_and_b32_e32 v6, 0xff, v8
	v_trunc_f32_e32 v8, v1
	v_sub_f32_e32 v9, v1, v8
	v_cmp_ge_f32_e64 s[10:11], |v9|, 0.5
	v_lshlrev_b32_e32 v6, 16, v6
	s_nop 0
	v_cndmask_b32_e64 v9, 0, 1.0, s[10:11]
	v_bfi_b32 v1, s16, v9, v1
	v_add_f32_e32 v1, v8, v1
	v_trunc_f32_e32 v8, v0
	v_sub_f32_e32 v9, v0, v8
	v_cmp_ge_f32_e64 s[10:11], |v9|, 0.5
	v_cvt_i32_f32_e32 v1, v1
	s_nop 0
	v_cndmask_b32_e64 v9, 0, 1.0, s[10:11]
	v_bfi_b32 v0, s16, v9, v0
	v_add_f32_e32 v0, v8, v0
	v_cvt_i32_f32_e32 v0, v0
	v_mov_b32_e32 v8, 8
	v_lshlrev_b32_sdwa v1, v8, v1 dst_sel:DWORD dst_unused:UNUSED_PAD src0_sel:DWORD src1_sel:BYTE_0
	v_lshl_or_b32 v0, v0, 24, v6
	v_or3_b32 v5, v0, v1, v5
.LBB23_9:
	s_or_b64 exec, exec, s[8:9]
	ds_write_b32 v7, v5 offset:128
	s_and_b64 exec, exec, s[4:5]
	s_cbranch_execz .LBB23_11
; %bb.10:
	s_waitcnt lgkmcnt(1)
	v_add_f32_e32 v3, v3, v4
	ds_write_b64 v68, v[2:3] offset:288
.LBB23_11:
	s_or_b64 exec, exec, s[6:7]
	v_and_b32_e32 v38, 3, v68
	v_lshlrev_b32_e32 v17, 2, v38
	v_mov_b32_e32 v73, 0
	s_waitcnt lgkmcnt(0)
	s_barrier
	ds_read2_b32 v[18:19], v17 offset1:4
	ds_read2_b32 v[20:21], v17 offset0:8 offset1:12
	ds_read_b128 v[0:3], v73 offset:256
	ds_read_b128 v[4:7], v73 offset:272
	;; [unrolled: 1-line block ×4, first 2 shown]
	ds_read2_b32 v[22:23], v17 offset0:16 offset1:20
	ds_read2_b32 v[24:25], v17 offset0:24 offset1:28
	;; [unrolled: 1-line block ×6, first 2 shown]
	s_ashr_i32 s41, s40, 31
	s_ashr_i32 s6, s38, 31
	;; [unrolled: 1-line block ×3, first 2 shown]
	s_cmp_eq_u64 s[26:27], 0
	s_waitcnt lgkmcnt(0)
	s_barrier
	s_cbranch_scc1 .LBB23_13
; %bb.12:
	s_load_dword s4, s[0:1], 0xd0
	s_mov_b32 s5, 0
	s_waitcnt lgkmcnt(0)
	s_mul_i32 s4, s4, s33
	s_add_i32 s4, s4, s2
	s_lshl_b64 s[4:5], s[4:5], 2
	s_add_u32 s4, s26, s4
	s_addc_u32 s5, s27, s5
	s_load_dword s42, s[4:5], 0x0
.LBB23_13:
	v_lshlrev_b32_e32 v50, 5, v35
	v_add_u32_e32 v17, v50, v68
	s_lshl_b32 s16, s3, 7
	s_mov_b32 s27, 0
	s_waitcnt lgkmcnt(0)
	s_cmp_ge_i32 s16, s42
	v_lshlrev_b32_e32 v72, 2, v68
	v_lshlrev_b32_e32 v70, 1, v17
	s_cbranch_scc1 .LBB23_25
; %bb.14:
	s_load_dwordx4 s[36:39], s[0:1], 0x98
	s_load_dwordx2 s[44:45], s[0:1], 0x8c
	s_load_dwordx2 s[4:5], s[0:1], 0xa8
	s_xor_b32 s6, s41, s6
	s_add_i32 s11, s49, 1
	s_waitcnt lgkmcnt(0)
	s_mul_hi_u32 s7, s36, s33
	s_mul_i32 s9, s36, s8
	s_mul_i32 s10, s37, s33
	s_add_i32 s7, s7, s9
	s_add_i32 s7, s7, s10
	s_mul_i32 s10, s49, s46
	s_sub_i32 s10, s47, s10
	s_sub_i32 s17, s10, s46
	s_cmp_ge_u32 s10, s46
	s_cselect_b32 s11, s11, s49
	s_cselect_b32 s10, s17, s10
	s_add_i32 s17, s11, 1
	s_cmp_ge_u32 s10, s46
	s_cselect_b32 s10, s17, s11
	s_xor_b32 s10, s10, s6
	s_sub_i32 s10, s10, s6
	s_mul_i32 s6, s10, s45
	s_mul_i32 s9, s36, s33
	s_ashr_i32 s11, s6, 31
	s_add_u32 s9, s18, s9
	s_addc_u32 s7, s19, s7
	s_add_u32 s9, s9, s6
	s_mul_hi_u32 s17, s4, s33
	s_mul_i32 s18, s4, s8
	s_addc_u32 s11, s7, s11
	s_add_i32 s17, s17, s18
	s_mul_i32 s5, s5, s33
	s_mul_i32 s10, s10, s39
	s_add_i32 s17, s17, s5
	s_mul_i32 s4, s4, s33
	s_ashr_i32 s5, s10, 31
	s_add_u32 s4, s20, s4
	s_addc_u32 s17, s21, s17
	s_add_u32 s10, s4, s10
	s_mul_i32 s48, s48, s12
	s_addc_u32 s21, s17, s5
	s_sub_i32 s4, s43, s48
	s_sub_i32 s5, s4, s12
	s_cmp_ge_u32 s4, s12
	s_cselect_b32 s4, s5, s4
	s_sub_i32 s5, s4, s12
	s_cmp_ge_u32 s4, s12
	s_load_dwordx2 s[6:7], s[0:1], 0xc8
	s_load_dword s26, s[0:1], 0xd4
	s_cselect_b32 s4, s5, s4
	s_xor_b32 s4, s4, s8
	s_sub_i32 s4, s4, s8
	s_ashr_i32 s5, s4, 31
	s_waitcnt lgkmcnt(0)
	s_mul_i32 s5, s6, s5
	s_mul_hi_u32 s8, s6, s4
	s_add_i32 s5, s8, s5
	s_mul_i32 s7, s7, s4
	s_add_i32 s5, s5, s7
	s_mul_i32 s4, s6, s4
	s_add_u32 s4, s22, s4
	s_mul_i32 s6, s13, s2
	v_mbcnt_hi_u32_b32 v48, -1, v69
	s_addc_u32 s5, s23, s5
	s_ashr_i32 s7, s6, 31
	v_and_b32_e32 v40, 0x7c, v48
	s_add_u32 s6, s4, s6
	s_mov_b32 s17, s27
	v_add_u32_e32 v40, 4, v40
	v_xor_b32_e32 v41, 2, v48
	s_addc_u32 s7, s5, s7
	s_lshl_b64 s[4:5], s[16:17], 1
	v_cmp_lt_i32_e32 vcc, v41, v40
	s_add_u32 s18, s6, s4
	s_addc_u32 s19, s7, s5
	v_cndmask_b32_e32 v41, v48, v41, vcc
	s_mul_i32 s4, s38, s16
	v_lshlrev_b32_e32 v74, 2, v41
	v_xor_b32_e32 v41, 1, v48
	s_add_u32 s20, s10, s4
	v_cmp_lt_i32_e32 vcc, v41, v40
	s_addc_u32 s21, s21, 0
	s_mul_i32 s4, s44, s16
	v_cndmask_b32_e32 v40, v48, v41, vcc
	s_add_u32 s36, s9, s4
	v_lshlrev_b32_e32 v75, 2, v40
	v_and_b32_e32 v40, 0x60, v48
	s_addc_u32 s37, s11, 0
	v_add_u32_e32 v49, 32, v40
	v_cmp_eq_u32_e64 s[4:5], 3, v38
	v_cmp_eq_u32_e64 s[6:7], 0, v38
	;; [unrolled: 1-line block ×4, first 2 shown]
	v_xor_b32_e32 v38, 4, v48
	v_cmp_lt_i32_e32 vcc, v38, v49
	v_lshrrev_b32_e32 v51, 3, v68
	v_and_b32_e32 v34, 0x7c, v68
	v_cndmask_b32_e32 v38, v48, v38, vcc
	v_lshlrev_b32_e32 v76, 2, v38
	v_xor_b32_e32 v38, 8, v48
	v_cmp_lt_i32_e32 vcc, v38, v49
	v_add_u32_e32 v34, v50, v34
	v_lshlrev_b32_e32 v40, 3, v68
	v_cndmask_b32_e32 v38, v48, v38, vcc
	v_lshlrev_b32_e32 v77, 2, v38
	v_xor_b32_e32 v38, 16, v48
	v_cmp_lt_i32_e32 vcc, v38, v49
	v_add_u32_e32 v62, v50, v51
	v_and_b32_e32 v64, 56, v40
	v_cndmask_b32_e32 v38, v48, v38, vcc
	v_lshlrev_b32_e32 v78, 2, v38
	v_or_b32_e32 v38, v50, v51
	v_lshlrev_b32_e32 v79, 1, v38
	v_mul_lo_u32 v48, v38, s38
	v_or_b32_e32 v38, 16, v38
	v_mul_lo_u32 v40, v34, s44
	v_mul_lo_u32 v56, v38, s38
	v_add_u32_e32 v38, 20, v62
	v_add_u32_e32 v42, s44, v40
	v_mul_lo_u32 v58, v38, s38
	v_add_u32_e32 v38, 24, v62
	s_cmp_lg_u64 s[22:23], 0
	v_add_u32_e32 v44, s44, v42
	v_add_u32_e32 v50, 4, v62
	;; [unrolled: 1-line block ×4, first 2 shown]
	v_mul_lo_u32 v60, v38, s38
	v_add_u32_e32 v38, 28, v62
	v_mov_b32_e32 v39, 0
	s_cselect_b64 s[22:23], -1, 0
	s_lshl_b32 s26, s26, 7
	v_add_u32_e32 v46, s44, v44
	v_lshlrev_b32_e32 v80, 1, v62
	v_mul_lo_u32 v50, v50, s38
	v_mul_lo_u32 v52, v52, s38
	;; [unrolled: 1-line block ×4, first 2 shown]
	v_and_b32_e32 v36, 12, v72
	v_mov_b32_e32 v37, v39
	s_mul_i32 s17, s26, s44
	s_mul_i32 s39, s26, s38
	v_ashrrev_i32_e32 v41, 31, v40
	v_ashrrev_i32_e32 v43, 31, v42
	;; [unrolled: 1-line block ×12, first 2 shown]
	v_mov_b32_e32 v99, 0xfeffffff
	s_mov_b32 s38, 0x3fb8aa3b
	s_mov_b32 s43, 0xc2ce8ed0
	;; [unrolled: 1-line block ×3, first 2 shown]
	v_lshlrev_b32_e32 v38, 1, v64
	v_mov_b32_e32 v81, 0x7f800000
	v_mov_b32_e32 v95, v39
	;; [unrolled: 1-line block ×18, first 2 shown]
                                        ; implicit-def: $vgpr82
.LBB23_15:                              ; =>This Inner Loop Header: Depth=1
	v_lshl_add_u64 v[64:65], s[36:37], 0, v[40:41]
	v_lshl_add_u64 v[66:67], v[64:65], 0, v[36:37]
	global_load_dword v100, v[66:67], off offset:4
	v_mov_b32_e32 v102, 0
	v_mov_b32_e32 v104, 0
	;; [unrolled: 1-line block ×3, first 2 shown]
	s_and_b64 vcc, exec, s[22:23]
	s_waitcnt vmcnt(0)
	v_and_b32_e32 v101, 0xf0f0f0f, v100
	v_dot4c_i32_i8_e32 v102, v101, v18
	global_load_dword v101, v[64:65], off
	v_lshrrev_b32_e32 v100, 4, v100
	v_and_b32_e32 v100, 0xf0f0f0f, v100
	v_cvt_f32_i32_e32 v102, v102
	v_dot4c_i32_i8_e32 v104, v100, v19
	s_waitcnt vmcnt(0)
	v_cvt_f32_f16_e32 v103, v101
	v_cvt_f32_f16_sdwa v101, v101 dst_sel:DWORD dst_unused:UNUSED_PAD src0_sel:WORD_1
	v_cvt_f32_i32_e32 v100, v104
	v_mul_f32_e32 v103, v0, v103
	v_mul_f32_e32 v101, v1, v101
	;; [unrolled: 1-line block ×3, first 2 shown]
	v_fma_f32 v102, v103, v102, v101
	v_add_f32_e32 v102, 0, v102
	v_fmac_f32_e32 v101, v103, v100
	v_add_f32_e32 v100, v101, v102
	global_load_dword v101, v[66:67], off offset:24
	v_mov_b32_e32 v103, 0
	s_waitcnt vmcnt(0)
	v_and_b32_e32 v102, 0xf0f0f0f, v101
	v_dot4c_i32_i8_e32 v103, v102, v20
	global_load_dword v102, v[64:65], off offset:20
	v_lshrrev_b32_e32 v101, 4, v101
	v_and_b32_e32 v101, 0xf0f0f0f, v101
	v_cvt_f32_i32_e32 v103, v103
	s_waitcnt vmcnt(0)
	v_cvt_f32_f16_e32 v104, v102
	v_cvt_f32_f16_sdwa v102, v102 dst_sel:DWORD dst_unused:UNUSED_PAD src0_sel:WORD_1
	v_mul_f32_e32 v104, v2, v104
	v_mul_f32_e32 v102, v3, v102
	;; [unrolled: 1-line block ×3, first 2 shown]
	v_fma_f32 v103, v104, v103, v102
	v_add_f32_e32 v100, v100, v103
	v_mov_b32_e32 v103, 0
	v_dot4c_i32_i8_e32 v103, v101, v21
	s_nop 2
	v_cvt_f32_i32_e32 v101, v103
	v_mov_b32_e32 v103, 0
	v_fmac_f32_e32 v102, v104, v101
	global_load_dword v101, v[66:67], off offset:44
	v_add_f32_e32 v100, v102, v100
	s_waitcnt vmcnt(0)
	v_and_b32_e32 v102, 0xf0f0f0f, v101
	v_dot4c_i32_i8_e32 v103, v102, v22
	global_load_dword v102, v[64:65], off offset:40
	v_lshrrev_b32_e32 v101, 4, v101
	v_and_b32_e32 v101, 0xf0f0f0f, v101
	v_cvt_f32_i32_e32 v103, v103
	s_waitcnt vmcnt(0)
	v_cvt_f32_f16_e32 v104, v102
	v_cvt_f32_f16_sdwa v102, v102 dst_sel:DWORD dst_unused:UNUSED_PAD src0_sel:WORD_1
	v_mul_f32_e32 v104, v4, v104
	v_mul_f32_e32 v102, v5, v102
	;; [unrolled: 1-line block ×3, first 2 shown]
	v_fma_f32 v103, v104, v103, v102
	v_add_f32_e32 v100, v100, v103
	v_mov_b32_e32 v103, 0
	v_dot4c_i32_i8_e32 v103, v101, v23
	s_nop 2
	v_cvt_f32_i32_e32 v101, v103
	v_fmac_f32_e32 v102, v104, v101
	global_load_dword v101, v[66:67], off offset:64
	v_add_f32_e32 v103, v102, v100
	v_mov_b32_e32 v104, 0
	s_waitcnt vmcnt(0)
	v_and_b32_e32 v100, 0xf0f0f0f, v101
	v_dot4c_i32_i8_e32 v104, v100, v24
	global_load_dword v100, v[64:65], off offset:60
	v_lshrrev_b32_e32 v101, 4, v101
	v_and_b32_e32 v101, 0xf0f0f0f, v101
	v_dot4c_i32_i8_e32 v106, v101, v25
	s_waitcnt vmcnt(0)
	v_cvt_f32_f16_e32 v102, v100
	v_cvt_f32_f16_sdwa v105, v100 dst_sel:DWORD dst_unused:UNUSED_PAD src0_sel:WORD_1
	v_mul_f32_e32 v100, v6, v102
	v_mul_f32_e32 v102, v7, v105
	v_cvt_f32_i32_e32 v105, v104
	v_cvt_f32_i32_e32 v104, v106
	v_mul_f32_e32 v102, 0x3e000000, v102
	v_mov_b32_e32 v106, 0
	v_pk_fma_f32 v[100:101], v[100:101], v[104:105], v[102:103] op_sel_hi:[0,1,0]
	v_add_f32_e32 v101, v103, v101
	v_add_f32_e32 v103, v100, v101
	global_load_dword v101, v[66:67], off offset:84
	v_mov_b32_e32 v104, 0
	s_waitcnt vmcnt(0)
	v_and_b32_e32 v100, 0xf0f0f0f, v101
	v_dot4c_i32_i8_e32 v104, v100, v26
	global_load_dword v100, v[64:65], off offset:80
	v_lshrrev_b32_e32 v101, 4, v101
	v_and_b32_e32 v101, 0xf0f0f0f, v101
	v_dot4c_i32_i8_e32 v106, v101, v27
	s_waitcnt vmcnt(0)
	v_cvt_f32_f16_e32 v102, v100
	v_cvt_f32_f16_sdwa v105, v100 dst_sel:DWORD dst_unused:UNUSED_PAD src0_sel:WORD_1
	v_mul_f32_e32 v100, v8, v102
	v_mul_f32_e32 v102, v9, v105
	v_cvt_f32_i32_e32 v105, v104
	v_cvt_f32_i32_e32 v104, v106
	v_mul_f32_e32 v102, 0x3e000000, v102
	v_mov_b32_e32 v106, 0
	v_pk_fma_f32 v[100:101], v[100:101], v[104:105], v[102:103] op_sel_hi:[0,1,0]
	v_add_f32_e32 v101, v103, v101
	v_add_f32_e32 v103, v100, v101
	global_load_dword v101, v[66:67], off offset:104
	;; [unrolled: 21-line block ×3, first 2 shown]
	v_mov_b32_e32 v104, 0
	global_load_dword v67, v[66:67], off offset:144
	s_waitcnt vmcnt(1)
	v_and_b32_e32 v100, 0xf0f0f0f, v101
	v_dot4c_i32_i8_e32 v104, v100, v30
	global_load_dword v100, v[64:65], off offset:120
	v_lshrrev_b32_e32 v101, 4, v101
	global_load_dword v64, v[64:65], off offset:140
	v_and_b32_e32 v101, 0xf0f0f0f, v101
	v_dot4c_i32_i8_e32 v106, v101, v31
	s_waitcnt vmcnt(2)
	v_and_b32_e32 v66, 0xf0f0f0f, v67
	s_waitcnt vmcnt(1)
	v_cvt_f32_f16_e32 v102, v100
	v_cvt_f32_f16_sdwa v105, v100 dst_sel:DWORD dst_unused:UNUSED_PAD src0_sel:WORD_1
	s_waitcnt vmcnt(0)
	v_cvt_f32_f16_e32 v65, v64
	v_mul_f32_e32 v100, v12, v102
	v_mul_f32_e32 v102, v13, v105
	v_cvt_f32_i32_e32 v105, v104
	v_cvt_f32_i32_e32 v104, v106
	v_mul_f32_e32 v102, 0x3e000000, v102
	v_pk_fma_f32 v[100:101], v[100:101], v[104:105], v[102:103] op_sel_hi:[0,1,0]
	v_add_f32_e32 v101, v103, v101
	v_add_f32_e32 v102, v100, v101
	v_mov_b32_e32 v100, 0
	v_dot4c_i32_i8_e32 v100, v66, v32
	v_cvt_f32_f16_sdwa v66, v64 dst_sel:DWORD dst_unused:UNUSED_PAD src0_sel:WORD_1
	v_mul_f32_e32 v64, v14, v65
	v_mul_f32_e32 v65, v15, v66
	;; [unrolled: 1-line block ×3, first 2 shown]
	v_lshrrev_b32_e32 v65, 4, v67
	v_and_b32_e32 v65, 0xf0f0f0f, v65
	v_mov_b32_e32 v67, 0
	v_dot4c_i32_i8_e32 v67, v65, v33
	v_cvt_f32_i32_e32 v101, v100
	s_nop 1
	v_cvt_f32_i32_e32 v100, v67
	v_pk_fma_f32 v[64:65], v[64:65], v[100:101], v[66:67] op_sel_hi:[0,1,0]
	v_add_f32_e32 v65, v102, v65
	v_add_f32_e32 v64, v64, v65
	ds_bpermute_b32 v65, v74, v64
	v_lshlrev_b32_e32 v101, 1, v34
	s_waitcnt lgkmcnt(0)
	v_add_f32_e32 v64, v64, v65
	ds_bpermute_b32 v65, v75, v64
	s_waitcnt lgkmcnt(0)
	v_add_f32_e32 v100, v64, v65
	s_cbranch_vccz .LBB23_17
; %bb.16:                               ;   in Loop: Header=BB23_15 Depth=1
	global_load_ushort v64, v101, s[18:19]
	s_waitcnt vmcnt(0)
	v_fma_mix_f32 v100, v71, v64, v100 op_sel_hi:[0,1,0]
.LBB23_17:                              ;   in Loop: Header=BB23_15 Depth=1
	v_lshl_add_u64 v[64:65], s[36:37], 0, v[42:43]
	v_lshl_add_u64 v[66:67], v[64:65], 0, v[36:37]
	global_load_dword v102, v[66:67], off offset:4
	v_mov_b32_e32 v104, 0
	v_mov_b32_e32 v106, 0
	;; [unrolled: 1-line block ×3, first 2 shown]
	s_andn2_b64 vcc, exec, s[22:23]
	s_waitcnt vmcnt(0)
	v_and_b32_e32 v103, 0xf0f0f0f, v102
	v_dot4c_i32_i8_e32 v104, v103, v18
	global_load_dword v103, v[64:65], off
	v_lshrrev_b32_e32 v102, 4, v102
	v_and_b32_e32 v102, 0xf0f0f0f, v102
	v_cvt_f32_i32_e32 v104, v104
	v_dot4c_i32_i8_e32 v106, v102, v19
	s_waitcnt vmcnt(0)
	v_cvt_f32_f16_e32 v105, v103
	v_cvt_f32_f16_sdwa v103, v103 dst_sel:DWORD dst_unused:UNUSED_PAD src0_sel:WORD_1
	v_cvt_f32_i32_e32 v102, v106
	v_mul_f32_e32 v105, v0, v105
	v_mul_f32_e32 v103, v1, v103
	;; [unrolled: 1-line block ×3, first 2 shown]
	v_fma_f32 v104, v105, v104, v103
	v_add_f32_e32 v104, 0, v104
	v_fmac_f32_e32 v103, v105, v102
	v_add_f32_e32 v102, v103, v104
	global_load_dword v103, v[66:67], off offset:24
	v_mov_b32_e32 v105, 0
	s_waitcnt vmcnt(0)
	v_and_b32_e32 v104, 0xf0f0f0f, v103
	v_dot4c_i32_i8_e32 v105, v104, v20
	global_load_dword v104, v[64:65], off offset:20
	v_lshrrev_b32_e32 v103, 4, v103
	v_and_b32_e32 v103, 0xf0f0f0f, v103
	v_cvt_f32_i32_e32 v105, v105
	s_waitcnt vmcnt(0)
	v_cvt_f32_f16_e32 v106, v104
	v_cvt_f32_f16_sdwa v104, v104 dst_sel:DWORD dst_unused:UNUSED_PAD src0_sel:WORD_1
	v_mul_f32_e32 v106, v2, v106
	v_mul_f32_e32 v104, v3, v104
	;; [unrolled: 1-line block ×3, first 2 shown]
	v_fma_f32 v105, v106, v105, v104
	v_add_f32_e32 v102, v102, v105
	v_mov_b32_e32 v105, 0
	v_dot4c_i32_i8_e32 v105, v103, v21
	s_nop 2
	v_cvt_f32_i32_e32 v103, v105
	v_mov_b32_e32 v105, 0
	v_fmac_f32_e32 v104, v106, v103
	global_load_dword v103, v[66:67], off offset:44
	v_add_f32_e32 v102, v104, v102
	s_waitcnt vmcnt(0)
	v_and_b32_e32 v104, 0xf0f0f0f, v103
	v_dot4c_i32_i8_e32 v105, v104, v22
	global_load_dword v104, v[64:65], off offset:40
	v_lshrrev_b32_e32 v103, 4, v103
	v_and_b32_e32 v103, 0xf0f0f0f, v103
	v_cvt_f32_i32_e32 v105, v105
	s_waitcnt vmcnt(0)
	v_cvt_f32_f16_e32 v106, v104
	v_cvt_f32_f16_sdwa v104, v104 dst_sel:DWORD dst_unused:UNUSED_PAD src0_sel:WORD_1
	v_mul_f32_e32 v106, v4, v106
	v_mul_f32_e32 v104, v5, v104
	;; [unrolled: 1-line block ×3, first 2 shown]
	v_fma_f32 v105, v106, v105, v104
	v_add_f32_e32 v102, v102, v105
	v_mov_b32_e32 v105, 0
	v_dot4c_i32_i8_e32 v105, v103, v23
	s_nop 2
	v_cvt_f32_i32_e32 v103, v105
	v_fmac_f32_e32 v104, v106, v103
	global_load_dword v103, v[66:67], off offset:64
	v_add_f32_e32 v105, v104, v102
	v_mov_b32_e32 v106, 0
	s_waitcnt vmcnt(0)
	v_and_b32_e32 v102, 0xf0f0f0f, v103
	v_dot4c_i32_i8_e32 v106, v102, v24
	global_load_dword v102, v[64:65], off offset:60
	v_lshrrev_b32_e32 v103, 4, v103
	v_and_b32_e32 v103, 0xf0f0f0f, v103
	v_dot4c_i32_i8_e32 v108, v103, v25
	s_waitcnt vmcnt(0)
	v_cvt_f32_f16_e32 v104, v102
	v_cvt_f32_f16_sdwa v107, v102 dst_sel:DWORD dst_unused:UNUSED_PAD src0_sel:WORD_1
	v_mul_f32_e32 v102, v6, v104
	v_mul_f32_e32 v104, v7, v107
	v_cvt_f32_i32_e32 v107, v106
	v_cvt_f32_i32_e32 v106, v108
	v_mul_f32_e32 v104, 0x3e000000, v104
	v_mov_b32_e32 v108, 0
	v_pk_fma_f32 v[102:103], v[102:103], v[106:107], v[104:105] op_sel_hi:[0,1,0]
	v_add_f32_e32 v103, v105, v103
	v_add_f32_e32 v105, v102, v103
	global_load_dword v103, v[66:67], off offset:84
	v_mov_b32_e32 v106, 0
	s_waitcnt vmcnt(0)
	v_and_b32_e32 v102, 0xf0f0f0f, v103
	v_dot4c_i32_i8_e32 v106, v102, v26
	global_load_dword v102, v[64:65], off offset:80
	v_lshrrev_b32_e32 v103, 4, v103
	v_and_b32_e32 v103, 0xf0f0f0f, v103
	v_dot4c_i32_i8_e32 v108, v103, v27
	s_waitcnt vmcnt(0)
	v_cvt_f32_f16_e32 v104, v102
	v_cvt_f32_f16_sdwa v107, v102 dst_sel:DWORD dst_unused:UNUSED_PAD src0_sel:WORD_1
	v_mul_f32_e32 v102, v8, v104
	v_mul_f32_e32 v104, v9, v107
	v_cvt_f32_i32_e32 v107, v106
	v_cvt_f32_i32_e32 v106, v108
	v_mul_f32_e32 v104, 0x3e000000, v104
	v_mov_b32_e32 v108, 0
	v_pk_fma_f32 v[102:103], v[102:103], v[106:107], v[104:105] op_sel_hi:[0,1,0]
	v_add_f32_e32 v103, v105, v103
	v_add_f32_e32 v105, v102, v103
	global_load_dword v103, v[66:67], off offset:104
	;; [unrolled: 21-line block ×3, first 2 shown]
	v_mov_b32_e32 v106, 0
	global_load_dword v67, v[66:67], off offset:144
	s_waitcnt vmcnt(1)
	v_and_b32_e32 v102, 0xf0f0f0f, v103
	v_dot4c_i32_i8_e32 v106, v102, v30
	global_load_dword v102, v[64:65], off offset:120
	v_lshrrev_b32_e32 v103, 4, v103
	global_load_dword v64, v[64:65], off offset:140
	v_and_b32_e32 v103, 0xf0f0f0f, v103
	v_dot4c_i32_i8_e32 v108, v103, v31
	s_waitcnt vmcnt(2)
	v_and_b32_e32 v66, 0xf0f0f0f, v67
	s_waitcnt vmcnt(1)
	v_cvt_f32_f16_e32 v104, v102
	v_cvt_f32_f16_sdwa v107, v102 dst_sel:DWORD dst_unused:UNUSED_PAD src0_sel:WORD_1
	s_waitcnt vmcnt(0)
	v_cvt_f32_f16_e32 v65, v64
	v_mul_f32_e32 v102, v12, v104
	v_mul_f32_e32 v104, v13, v107
	v_cvt_f32_i32_e32 v107, v106
	v_cvt_f32_i32_e32 v106, v108
	v_mul_f32_e32 v104, 0x3e000000, v104
	v_pk_fma_f32 v[102:103], v[102:103], v[106:107], v[104:105] op_sel_hi:[0,1,0]
	v_add_f32_e32 v103, v105, v103
	v_add_f32_e32 v104, v102, v103
	v_mov_b32_e32 v102, 0
	v_dot4c_i32_i8_e32 v102, v66, v32
	v_cvt_f32_f16_sdwa v66, v64 dst_sel:DWORD dst_unused:UNUSED_PAD src0_sel:WORD_1
	v_mul_f32_e32 v64, v14, v65
	v_mul_f32_e32 v65, v15, v66
	;; [unrolled: 1-line block ×3, first 2 shown]
	v_lshrrev_b32_e32 v65, 4, v67
	v_and_b32_e32 v65, 0xf0f0f0f, v65
	v_mov_b32_e32 v67, 0
	v_dot4c_i32_i8_e32 v67, v65, v33
	v_cvt_f32_i32_e32 v103, v102
	s_nop 1
	v_cvt_f32_i32_e32 v102, v67
	v_pk_fma_f32 v[64:65], v[64:65], v[102:103], v[66:67] op_sel_hi:[0,1,0]
	v_add_f32_e32 v65, v104, v65
	v_add_f32_e32 v64, v64, v65
	ds_bpermute_b32 v65, v74, v64
	s_waitcnt lgkmcnt(0)
	v_add_f32_e32 v64, v64, v65
	ds_bpermute_b32 v65, v75, v64
	s_waitcnt lgkmcnt(0)
	v_add_f32_e32 v102, v64, v65
	v_cndmask_b32_e64 v64, 0, 1, s[22:23]
	v_cmp_ne_u32_e64 s[12:13], 1, v64
	s_cbranch_vccnz .LBB23_19
; %bb.18:                               ;   in Loop: Header=BB23_15 Depth=1
	global_load_ushort v64, v101, s[18:19] offset:2
	s_waitcnt vmcnt(0)
	v_fma_mix_f32 v102, v71, v64, v102 op_sel_hi:[0,1,0]
.LBB23_19:                              ;   in Loop: Header=BB23_15 Depth=1
	v_lshl_add_u64 v[64:65], s[36:37], 0, v[44:45]
	v_lshl_add_u64 v[66:67], v[64:65], 0, v[36:37]
	global_load_dword v103, v[66:67], off offset:4
	v_mov_b32_e32 v105, 0
	v_mov_b32_e32 v107, 0
	s_and_b64 vcc, exec, s[12:13]
	s_waitcnt vmcnt(0)
	v_and_b32_e32 v104, 0xf0f0f0f, v103
	v_dot4c_i32_i8_e32 v105, v104, v18
	global_load_dword v104, v[64:65], off
	v_lshrrev_b32_e32 v103, 4, v103
	v_and_b32_e32 v103, 0xf0f0f0f, v103
	v_cvt_f32_i32_e32 v105, v105
	v_dot4c_i32_i8_e32 v107, v103, v19
	s_waitcnt vmcnt(0)
	v_cvt_f32_f16_e32 v106, v104
	v_cvt_f32_f16_sdwa v104, v104 dst_sel:DWORD dst_unused:UNUSED_PAD src0_sel:WORD_1
	v_cvt_f32_i32_e32 v103, v107
	v_mul_f32_e32 v106, v0, v106
	v_mul_f32_e32 v104, v1, v104
	;; [unrolled: 1-line block ×3, first 2 shown]
	v_fma_f32 v105, v106, v105, v104
	v_add_f32_e32 v105, 0, v105
	v_fmac_f32_e32 v104, v106, v103
	v_add_f32_e32 v103, v104, v105
	global_load_dword v104, v[66:67], off offset:24
	v_mov_b32_e32 v106, 0
	s_waitcnt vmcnt(0)
	v_and_b32_e32 v105, 0xf0f0f0f, v104
	v_dot4c_i32_i8_e32 v106, v105, v20
	global_load_dword v105, v[64:65], off offset:20
	v_lshrrev_b32_e32 v104, 4, v104
	v_and_b32_e32 v104, 0xf0f0f0f, v104
	v_cvt_f32_i32_e32 v106, v106
	s_waitcnt vmcnt(0)
	v_cvt_f32_f16_e32 v107, v105
	v_cvt_f32_f16_sdwa v105, v105 dst_sel:DWORD dst_unused:UNUSED_PAD src0_sel:WORD_1
	v_mul_f32_e32 v107, v2, v107
	v_mul_f32_e32 v105, v3, v105
	;; [unrolled: 1-line block ×3, first 2 shown]
	v_fma_f32 v106, v107, v106, v105
	v_add_f32_e32 v103, v103, v106
	v_mov_b32_e32 v106, 0
	v_dot4c_i32_i8_e32 v106, v104, v21
	s_nop 2
	v_cvt_f32_i32_e32 v104, v106
	v_mov_b32_e32 v106, 0
	v_fmac_f32_e32 v105, v107, v104
	global_load_dword v104, v[66:67], off offset:44
	v_add_f32_e32 v103, v105, v103
	s_waitcnt vmcnt(0)
	v_and_b32_e32 v105, 0xf0f0f0f, v104
	v_dot4c_i32_i8_e32 v106, v105, v22
	global_load_dword v105, v[64:65], off offset:40
	v_lshrrev_b32_e32 v104, 4, v104
	v_and_b32_e32 v104, 0xf0f0f0f, v104
	v_cvt_f32_i32_e32 v106, v106
	s_waitcnt vmcnt(0)
	v_cvt_f32_f16_e32 v107, v105
	v_cvt_f32_f16_sdwa v105, v105 dst_sel:DWORD dst_unused:UNUSED_PAD src0_sel:WORD_1
	v_mul_f32_e32 v107, v4, v107
	v_mul_f32_e32 v105, v5, v105
	;; [unrolled: 1-line block ×3, first 2 shown]
	v_fma_f32 v106, v107, v106, v105
	v_add_f32_e32 v103, v103, v106
	v_mov_b32_e32 v106, 0
	v_dot4c_i32_i8_e32 v106, v104, v23
	s_nop 2
	v_cvt_f32_i32_e32 v104, v106
	v_fmac_f32_e32 v105, v107, v104
	v_add_f32_e32 v103, v105, v103
	global_load_dword v105, v[66:67], off offset:64
	v_mov_b32_e32 v107, 0
	s_waitcnt vmcnt(0)
	v_and_b32_e32 v104, 0xf0f0f0f, v105
	v_dot4c_i32_i8_e32 v107, v104, v24
	global_load_dword v104, v[64:65], off offset:60
	v_lshrrev_b32_e32 v105, 4, v105
	v_and_b32_e32 v105, 0xf0f0f0f, v105
	v_cvt_f32_i32_e32 v109, v107
	s_waitcnt vmcnt(0)
	v_cvt_f32_f16_e32 v106, v104
	v_cvt_f32_f16_sdwa v108, v104 dst_sel:DWORD dst_unused:UNUSED_PAD src0_sel:WORD_1
	v_mul_f32_e32 v104, v6, v106
	v_mul_f32_e32 v106, v7, v108
	v_mov_b32_e32 v108, 0
	v_dot4c_i32_i8_e32 v108, v105, v25
	v_mul_f32_e32 v106, 0x3e000000, v106
	s_nop 1
	v_cvt_f32_i32_e32 v108, v108
	v_pk_fma_f32 v[104:105], v[104:105], v[108:109], v[106:107] op_sel_hi:[0,1,0]
	v_add_f32_e32 v103, v103, v105
	global_load_dword v105, v[66:67], off offset:84
	v_add_f32_e32 v103, v104, v103
	v_mov_b32_e32 v107, 0
	s_waitcnt vmcnt(0)
	v_and_b32_e32 v104, 0xf0f0f0f, v105
	v_dot4c_i32_i8_e32 v107, v104, v26
	global_load_dword v104, v[64:65], off offset:80
	v_lshrrev_b32_e32 v105, 4, v105
	v_and_b32_e32 v105, 0xf0f0f0f, v105
	v_cvt_f32_i32_e32 v109, v107
	s_waitcnt vmcnt(0)
	v_cvt_f32_f16_e32 v106, v104
	v_cvt_f32_f16_sdwa v108, v104 dst_sel:DWORD dst_unused:UNUSED_PAD src0_sel:WORD_1
	v_mul_f32_e32 v104, v8, v106
	v_mul_f32_e32 v106, v9, v108
	v_mov_b32_e32 v108, 0
	v_dot4c_i32_i8_e32 v108, v105, v27
	v_mul_f32_e32 v106, 0x3e000000, v106
	s_nop 1
	v_cvt_f32_i32_e32 v108, v108
	v_pk_fma_f32 v[104:105], v[104:105], v[108:109], v[106:107] op_sel_hi:[0,1,0]
	v_add_f32_e32 v103, v103, v105
	global_load_dword v105, v[66:67], off offset:104
	v_add_f32_e32 v103, v104, v103
	v_mov_b32_e32 v107, 0
	s_waitcnt vmcnt(0)
	v_and_b32_e32 v104, 0xf0f0f0f, v105
	v_dot4c_i32_i8_e32 v107, v104, v28
	global_load_dword v104, v[64:65], off offset:100
	v_lshrrev_b32_e32 v105, 4, v105
	v_and_b32_e32 v105, 0xf0f0f0f, v105
	v_cvt_f32_i32_e32 v109, v107
	s_waitcnt vmcnt(0)
	v_cvt_f32_f16_e32 v106, v104
	v_cvt_f32_f16_sdwa v108, v104 dst_sel:DWORD dst_unused:UNUSED_PAD src0_sel:WORD_1
	v_mul_f32_e32 v104, v10, v106
	v_mul_f32_e32 v106, v11, v108
	v_mov_b32_e32 v108, 0
	v_dot4c_i32_i8_e32 v108, v105, v29
	v_mul_f32_e32 v106, 0x3e000000, v106
	s_nop 1
	v_cvt_f32_i32_e32 v108, v108
	v_pk_fma_f32 v[104:105], v[104:105], v[108:109], v[106:107] op_sel_hi:[0,1,0]
	v_add_f32_e32 v103, v103, v105
	global_load_dword v105, v[66:67], off offset:124
	v_add_f32_e32 v103, v104, v103
	v_mov_b32_e32 v107, 0
	global_load_dword v67, v[66:67], off offset:144
	s_waitcnt vmcnt(1)
	v_and_b32_e32 v104, 0xf0f0f0f, v105
	v_dot4c_i32_i8_e32 v107, v104, v30
	global_load_dword v104, v[64:65], off offset:120
	v_lshrrev_b32_e32 v105, 4, v105
	global_load_dword v64, v[64:65], off offset:140
	v_and_b32_e32 v105, 0xf0f0f0f, v105
	v_cvt_f32_i32_e32 v109, v107
	s_waitcnt vmcnt(2)
	v_and_b32_e32 v66, 0xf0f0f0f, v67
	s_waitcnt vmcnt(1)
	v_cvt_f32_f16_e32 v106, v104
	v_cvt_f32_f16_sdwa v108, v104 dst_sel:DWORD dst_unused:UNUSED_PAD src0_sel:WORD_1
	s_waitcnt vmcnt(0)
	v_cvt_f32_f16_e32 v65, v64
	v_mul_f32_e32 v104, v12, v106
	v_mul_f32_e32 v106, v13, v108
	v_mov_b32_e32 v108, 0
	v_dot4c_i32_i8_e32 v108, v105, v31
	v_mul_f32_e32 v106, 0x3e000000, v106
	s_nop 1
	v_cvt_f32_i32_e32 v108, v108
	v_pk_fma_f32 v[104:105], v[104:105], v[108:109], v[106:107] op_sel_hi:[0,1,0]
	v_add_f32_e32 v103, v103, v105
	v_add_f32_e32 v103, v104, v103
	v_mov_b32_e32 v104, 0
	v_dot4c_i32_i8_e32 v104, v66, v32
	v_cvt_f32_f16_sdwa v66, v64 dst_sel:DWORD dst_unused:UNUSED_PAD src0_sel:WORD_1
	v_mul_f32_e32 v64, v14, v65
	v_mul_f32_e32 v65, v15, v66
	;; [unrolled: 1-line block ×3, first 2 shown]
	v_lshrrev_b32_e32 v65, 4, v67
	v_and_b32_e32 v65, 0xf0f0f0f, v65
	v_mov_b32_e32 v67, 0
	v_dot4c_i32_i8_e32 v67, v65, v33
	v_cvt_f32_i32_e32 v105, v104
	s_nop 1
	v_cvt_f32_i32_e32 v104, v67
	v_pk_fma_f32 v[64:65], v[64:65], v[104:105], v[66:67] op_sel_hi:[0,1,0]
	v_add_f32_e32 v65, v103, v65
	v_add_f32_e32 v64, v64, v65
	ds_bpermute_b32 v65, v74, v64
	s_waitcnt lgkmcnt(0)
	v_add_f32_e32 v64, v64, v65
	ds_bpermute_b32 v65, v75, v64
	s_waitcnt lgkmcnt(0)
	v_add_f32_e32 v103, v64, v65
	s_cbranch_vccnz .LBB23_21
; %bb.20:                               ;   in Loop: Header=BB23_15 Depth=1
	global_load_ushort v64, v101, s[18:19] offset:4
	s_waitcnt vmcnt(0)
	v_fma_mix_f32 v103, v71, v64, v103 op_sel_hi:[0,1,0]
.LBB23_21:                              ;   in Loop: Header=BB23_15 Depth=1
	v_lshl_add_u64 v[64:65], s[36:37], 0, v[46:47]
	v_lshl_add_u64 v[66:67], v[64:65], 0, v[36:37]
	global_load_dword v104, v[66:67], off offset:4
	v_mov_b32_e32 v106, 0
	v_mov_b32_e32 v108, 0
	;; [unrolled: 1-line block ×3, first 2 shown]
	s_and_b64 vcc, exec, s[12:13]
	s_waitcnt vmcnt(0)
	v_and_b32_e32 v105, 0xf0f0f0f, v104
	v_dot4c_i32_i8_e32 v106, v105, v18
	global_load_dword v105, v[64:65], off
	v_lshrrev_b32_e32 v104, 4, v104
	v_and_b32_e32 v104, 0xf0f0f0f, v104
	v_cvt_f32_i32_e32 v106, v106
	v_dot4c_i32_i8_e32 v108, v104, v19
	s_waitcnt vmcnt(0)
	v_cvt_f32_f16_e32 v107, v105
	v_cvt_f32_f16_sdwa v105, v105 dst_sel:DWORD dst_unused:UNUSED_PAD src0_sel:WORD_1
	v_cvt_f32_i32_e32 v104, v108
	v_mul_f32_e32 v107, v0, v107
	v_mul_f32_e32 v105, v1, v105
	;; [unrolled: 1-line block ×3, first 2 shown]
	v_fma_f32 v106, v107, v106, v105
	v_add_f32_e32 v106, 0, v106
	v_fmac_f32_e32 v105, v107, v104
	v_add_f32_e32 v104, v105, v106
	global_load_dword v105, v[66:67], off offset:24
	v_mov_b32_e32 v107, 0
	s_waitcnt vmcnt(0)
	v_and_b32_e32 v106, 0xf0f0f0f, v105
	v_dot4c_i32_i8_e32 v107, v106, v20
	global_load_dword v106, v[64:65], off offset:20
	v_lshrrev_b32_e32 v105, 4, v105
	v_and_b32_e32 v105, 0xf0f0f0f, v105
	v_cvt_f32_i32_e32 v107, v107
	s_waitcnt vmcnt(0)
	v_cvt_f32_f16_e32 v108, v106
	v_cvt_f32_f16_sdwa v106, v106 dst_sel:DWORD dst_unused:UNUSED_PAD src0_sel:WORD_1
	v_mul_f32_e32 v108, v2, v108
	v_mul_f32_e32 v106, v3, v106
	;; [unrolled: 1-line block ×3, first 2 shown]
	v_fma_f32 v107, v108, v107, v106
	v_add_f32_e32 v104, v104, v107
	v_mov_b32_e32 v107, 0
	v_dot4c_i32_i8_e32 v107, v105, v21
	s_nop 2
	v_cvt_f32_i32_e32 v105, v107
	v_mov_b32_e32 v107, 0
	v_fmac_f32_e32 v106, v108, v105
	global_load_dword v105, v[66:67], off offset:44
	v_add_f32_e32 v104, v106, v104
	s_waitcnt vmcnt(0)
	v_and_b32_e32 v106, 0xf0f0f0f, v105
	v_dot4c_i32_i8_e32 v107, v106, v22
	global_load_dword v106, v[64:65], off offset:40
	v_lshrrev_b32_e32 v105, 4, v105
	v_and_b32_e32 v105, 0xf0f0f0f, v105
	v_cvt_f32_i32_e32 v107, v107
	s_waitcnt vmcnt(0)
	v_cvt_f32_f16_e32 v108, v106
	v_cvt_f32_f16_sdwa v106, v106 dst_sel:DWORD dst_unused:UNUSED_PAD src0_sel:WORD_1
	v_mul_f32_e32 v108, v4, v108
	v_mul_f32_e32 v106, v5, v106
	;; [unrolled: 1-line block ×3, first 2 shown]
	v_fma_f32 v107, v108, v107, v106
	v_add_f32_e32 v104, v104, v107
	v_mov_b32_e32 v107, 0
	v_dot4c_i32_i8_e32 v107, v105, v23
	s_nop 2
	v_cvt_f32_i32_e32 v105, v107
	v_fmac_f32_e32 v106, v108, v105
	global_load_dword v105, v[66:67], off offset:64
	v_add_f32_e32 v107, v106, v104
	v_mov_b32_e32 v108, 0
	s_waitcnt vmcnt(0)
	v_and_b32_e32 v104, 0xf0f0f0f, v105
	v_dot4c_i32_i8_e32 v108, v104, v24
	global_load_dword v104, v[64:65], off offset:60
	v_lshrrev_b32_e32 v105, 4, v105
	v_and_b32_e32 v105, 0xf0f0f0f, v105
	v_dot4c_i32_i8_e32 v110, v105, v25
	s_waitcnt vmcnt(0)
	v_cvt_f32_f16_e32 v106, v104
	v_cvt_f32_f16_sdwa v109, v104 dst_sel:DWORD dst_unused:UNUSED_PAD src0_sel:WORD_1
	v_mul_f32_e32 v104, v6, v106
	v_mul_f32_e32 v106, v7, v109
	v_cvt_f32_i32_e32 v109, v108
	v_cvt_f32_i32_e32 v108, v110
	v_mul_f32_e32 v106, 0x3e000000, v106
	v_mov_b32_e32 v110, 0
	v_pk_fma_f32 v[104:105], v[104:105], v[108:109], v[106:107] op_sel_hi:[0,1,0]
	v_add_f32_e32 v105, v107, v105
	v_add_f32_e32 v107, v104, v105
	global_load_dword v105, v[66:67], off offset:84
	v_mov_b32_e32 v108, 0
	s_waitcnt vmcnt(0)
	v_and_b32_e32 v104, 0xf0f0f0f, v105
	v_dot4c_i32_i8_e32 v108, v104, v26
	global_load_dword v104, v[64:65], off offset:80
	v_lshrrev_b32_e32 v105, 4, v105
	v_and_b32_e32 v105, 0xf0f0f0f, v105
	v_dot4c_i32_i8_e32 v110, v105, v27
	s_waitcnt vmcnt(0)
	v_cvt_f32_f16_e32 v106, v104
	v_cvt_f32_f16_sdwa v109, v104 dst_sel:DWORD dst_unused:UNUSED_PAD src0_sel:WORD_1
	v_mul_f32_e32 v104, v8, v106
	v_mul_f32_e32 v106, v9, v109
	v_cvt_f32_i32_e32 v109, v108
	v_cvt_f32_i32_e32 v108, v110
	v_mul_f32_e32 v106, 0x3e000000, v106
	v_mov_b32_e32 v110, 0
	v_pk_fma_f32 v[104:105], v[104:105], v[108:109], v[106:107] op_sel_hi:[0,1,0]
	v_add_f32_e32 v105, v107, v105
	v_add_f32_e32 v107, v104, v105
	global_load_dword v105, v[66:67], off offset:104
	;; [unrolled: 21-line block ×3, first 2 shown]
	v_mov_b32_e32 v108, 0
	global_load_dword v67, v[66:67], off offset:144
	s_waitcnt vmcnt(1)
	v_and_b32_e32 v104, 0xf0f0f0f, v105
	v_dot4c_i32_i8_e32 v108, v104, v30
	global_load_dword v104, v[64:65], off offset:120
	v_lshrrev_b32_e32 v105, 4, v105
	global_load_dword v64, v[64:65], off offset:140
	v_and_b32_e32 v105, 0xf0f0f0f, v105
	v_dot4c_i32_i8_e32 v110, v105, v31
	s_waitcnt vmcnt(2)
	v_and_b32_e32 v66, 0xf0f0f0f, v67
	s_waitcnt vmcnt(1)
	v_cvt_f32_f16_e32 v106, v104
	v_cvt_f32_f16_sdwa v109, v104 dst_sel:DWORD dst_unused:UNUSED_PAD src0_sel:WORD_1
	s_waitcnt vmcnt(0)
	v_cvt_f32_f16_e32 v65, v64
	v_mul_f32_e32 v104, v12, v106
	v_mul_f32_e32 v106, v13, v109
	v_cvt_f32_i32_e32 v109, v108
	v_cvt_f32_i32_e32 v108, v110
	v_mul_f32_e32 v106, 0x3e000000, v106
	v_pk_fma_f32 v[104:105], v[104:105], v[108:109], v[106:107] op_sel_hi:[0,1,0]
	v_add_f32_e32 v105, v107, v105
	v_add_f32_e32 v106, v104, v105
	v_mov_b32_e32 v104, 0
	v_dot4c_i32_i8_e32 v104, v66, v32
	v_cvt_f32_f16_sdwa v66, v64 dst_sel:DWORD dst_unused:UNUSED_PAD src0_sel:WORD_1
	v_mul_f32_e32 v64, v14, v65
	v_mul_f32_e32 v65, v15, v66
	;; [unrolled: 1-line block ×3, first 2 shown]
	v_lshrrev_b32_e32 v65, 4, v67
	v_and_b32_e32 v65, 0xf0f0f0f, v65
	v_mov_b32_e32 v67, 0
	v_dot4c_i32_i8_e32 v67, v65, v33
	v_cvt_f32_i32_e32 v105, v104
	s_nop 1
	v_cvt_f32_i32_e32 v104, v67
	v_pk_fma_f32 v[64:65], v[64:65], v[104:105], v[66:67] op_sel_hi:[0,1,0]
	v_add_f32_e32 v65, v106, v65
	v_add_f32_e32 v64, v64, v65
	ds_bpermute_b32 v65, v74, v64
	s_waitcnt lgkmcnt(0)
	v_add_f32_e32 v64, v64, v65
	ds_bpermute_b32 v65, v75, v64
	s_waitcnt lgkmcnt(0)
	v_add_f32_e32 v65, v64, v65
	s_cbranch_vccnz .LBB23_23
; %bb.22:                               ;   in Loop: Header=BB23_15 Depth=1
	global_load_ushort v64, v101, s[18:19] offset:6
	s_waitcnt vmcnt(0)
	v_fma_mix_f32 v65, v71, v64, v65 op_sel_hi:[0,1,0]
.LBB23_23:                              ;   in Loop: Header=BB23_15 Depth=1
	v_add_f32_e32 v64, 0x40051340, v100
	v_add_f32_e32 v67, 0x40051340, v102
	v_cndmask_b32_e64 v66, v82, v100, s[6:7]
	v_max3_f32 v64, v99, v64, v67
	v_add_f32_e32 v67, 0x40051340, v103
	v_add_f32_e32 v82, 0x40051340, v65
	v_max3_f32 v64, v64, v67, v82
	ds_bpermute_b32 v67, v76, v64
	v_cndmask_b32_e64 v66, v66, v102, s[8:9]
	v_cndmask_b32_e64 v66, v66, v103, s[10:11]
	;; [unrolled: 1-line block ×3, first 2 shown]
	s_add_i32 s16, s26, s16
	s_waitcnt lgkmcnt(0)
	v_max_f32_e32 v67, v67, v67
	v_max_f32_e32 v64, v64, v67
	ds_bpermute_b32 v67, v77, v64
	s_add_u32 s36, s36, s17
	s_addc_u32 s37, s37, 0
	s_waitcnt lgkmcnt(0)
	v_max_f32_e32 v67, v67, v67
	v_max_f32_e32 v64, v64, v67
	ds_bpermute_b32 v67, v78, v64
	s_waitcnt lgkmcnt(0)
	v_max_f32_e32 v67, v67, v67
	v_max_f32_e32 v64, v64, v67
	v_sub_f32_e32 v66, v99, v64
	v_mul_f32_e32 v67, 0x3fb8aa3b, v66
	v_fma_f32 v82, v66, s38, -v67
	v_rndne_f32_e32 v99, v67
	v_fmac_f32_e32 v82, 0x32a5705f, v66
	v_sub_f32_e32 v67, v67, v99
	v_add_f32_e32 v67, v67, v82
	v_exp_f32_e32 v67, v67
	v_cvt_i32_f32_e32 v82, v99
	v_cmp_ngt_f32_e32 vcc, s43, v66
	v_sub_f32_e32 v65, v65, v64
	v_ldexp_f32 v67, v67, v82
	v_cndmask_b32_e32 v67, 0, v67, vcc
	v_cmp_nlt_f32_e32 vcc, s44, v66
	s_nop 1
	v_cndmask_b32_e32 v66, v81, v67, vcc
	v_mul_f32_e32 v67, 0x3fb8aa3b, v65
	v_fma_f32 v82, v65, s38, -v67
	v_rndne_f32_e32 v99, v67
	v_fmac_f32_e32 v82, 0x32a5705f, v65
	v_sub_f32_e32 v67, v67, v99
	v_add_f32_e32 v67, v67, v82
	v_exp_f32_e32 v67, v67
	v_cvt_i32_f32_e32 v82, v99
	v_cmp_ngt_f32_e32 vcc, s43, v65
	v_ldexp_f32 v67, v67, v82
	s_nop 0
	v_cndmask_b32_e32 v67, 0, v67, vcc
	v_cmp_nlt_f32_e32 vcc, s44, v65
	v_cvt_f16_f32_e32 v65, v66
	v_mul_u32_u24_e32 v65, 0x10001, v65
	v_cndmask_b32_e32 v82, v81, v67, vcc
	v_cvt_f16_f32_e32 v67, v82
	v_pk_mul_f16 v99, v84, v65
	v_fma_f32 v73, v73, v66, v82
	v_pk_mul_f16 v66, v83, v65
	ds_write_b16 v70, v67
	ds_read_u16 v84, v79
	ds_read_u16 v67, v79 offset:32
	v_pk_mul_f16 v83, v86, v65
	v_pk_mul_f16 v100, v85, v65
	;; [unrolled: 1-line block ×14, first 2 shown]
	s_waitcnt lgkmcnt(1)
	v_mul_u32_u24_e32 v95, 0x10001, v84
	v_lshl_add_u64 v[84:85], s[20:21], 0, v[48:49]
	v_lshl_add_u64 v[88:89], v[84:85], 0, v[38:39]
	global_load_dwordx4 v[84:87], v[88:89], off
	s_waitcnt lgkmcnt(0)
	v_mul_u32_u24_e32 v67, 0x10001, v67
	s_waitcnt vmcnt(0)
	v_lshlrev_b32_e32 v104, 16, v84
	v_and_b32_e32 v84, 0xffff0000, v84
	v_lshlrev_b32_e32 v105, 16, v85
	v_and_b32_e32 v85, 0xffff0000, v85
	;; [unrolled: 2-line block ×4, first 2 shown]
	v_cvt_pk_f16_f32 v84, v104, v84
	v_cvt_pk_f16_f32 v85, v105, v85
	;; [unrolled: 1-line block ×4, first 2 shown]
	v_pk_fma_f16 v104, v84, v95, v66
	v_pk_fma_f16 v105, v85, v95, v83
	;; [unrolled: 1-line block ×4, first 2 shown]
	global_load_dwordx4 v[84:87], v[88:89], off offset:128
	s_waitcnt vmcnt(0)
	v_lshlrev_b32_e32 v66, 16, v84
	v_and_b32_e32 v83, 0xffff0000, v84
	v_lshlrev_b32_e32 v84, 16, v85
	v_and_b32_e32 v85, 0xffff0000, v85
	;; [unrolled: 2-line block ×4, first 2 shown]
	v_cvt_pk_f16_f32 v66, v66, v83
	v_cvt_pk_f16_f32 v83, v84, v85
	;; [unrolled: 1-line block ×4, first 2 shown]
	v_pk_fma_f16 v102, v84, v95, v102
	v_pk_fma_f16 v103, v85, v95, v103
	global_load_dwordx4 v[84:87], v[88:89], off offset:256
	v_pk_fma_f16 v90, v66, v95, v90
	v_pk_fma_f16 v101, v83, v95, v101
	s_waitcnt vmcnt(0)
	v_lshlrev_b32_e32 v66, 16, v84
	v_and_b32_e32 v83, 0xffff0000, v84
	v_lshlrev_b32_e32 v84, 16, v85
	v_and_b32_e32 v85, 0xffff0000, v85
	;; [unrolled: 2-line block ×4, first 2 shown]
	v_cvt_pk_f16_f32 v66, v66, v83
	v_cvt_pk_f16_f32 v83, v84, v85
	;; [unrolled: 1-line block ×4, first 2 shown]
	v_pk_fma_f16 v92, v84, v95, v92
	v_pk_fma_f16 v91, v85, v95, v91
	global_load_dwordx4 v[84:87], v[88:89], off offset:384
	v_pk_fma_f16 v94, v66, v95, v94
	v_pk_fma_f16 v93, v83, v95, v93
	s_waitcnt vmcnt(0)
	v_lshlrev_b32_e32 v66, 16, v84
	v_and_b32_e32 v83, 0xffff0000, v84
	v_lshlrev_b32_e32 v84, 16, v85
	v_and_b32_e32 v85, 0xffff0000, v85
	v_lshlrev_b32_e32 v88, 16, v86
	v_and_b32_e32 v86, 0xffff0000, v86
	v_lshlrev_b32_e32 v89, 16, v87
	v_and_b32_e32 v87, 0xffff0000, v87
	v_cvt_pk_f16_f32 v66, v66, v83
	v_cvt_pk_f16_f32 v83, v84, v85
	v_cvt_pk_f16_f32 v84, v88, v86
	v_cvt_pk_f16_f32 v85, v89, v87
	v_pk_fma_f16 v98, v66, v95, v98
	v_pk_fma_f16 v97, v83, v95, v97
	;; [unrolled: 1-line block ×4, first 2 shown]
	ds_read_u16 v84, v80 offset:8
	ds_read_u16 v106, v80 offset:16
	;; [unrolled: 1-line block ×6, first 2 shown]
	s_waitcnt lgkmcnt(5)
	v_mul_u32_u24_e32 v108, 0x10001, v84
	v_lshl_add_u64 v[84:85], s[20:21], 0, v[50:51]
	v_lshl_add_u64 v[88:89], v[84:85], 0, v[38:39]
	global_load_dwordx4 v[84:87], v[88:89], off
	s_waitcnt lgkmcnt(4)
	v_mul_u32_u24_e32 v106, 0x10001, v106
	s_waitcnt lgkmcnt(2)
	v_mul_u32_u24_e32 v83, 0x10001, v83
	;; [unrolled: 2-line block ×3, first 2 shown]
	s_waitcnt vmcnt(0)
	v_lshlrev_b32_e32 v109, 16, v84
	v_and_b32_e32 v84, 0xffff0000, v84
	v_lshlrev_b32_e32 v110, 16, v85
	v_and_b32_e32 v85, 0xffff0000, v85
	v_lshlrev_b32_e32 v111, 16, v86
	v_and_b32_e32 v86, 0xffff0000, v86
	v_lshlrev_b32_e32 v112, 16, v87
	v_and_b32_e32 v87, 0xffff0000, v87
	v_cvt_pk_f16_f32 v84, v109, v84
	v_cvt_pk_f16_f32 v85, v110, v85
	v_cvt_pk_f16_f32 v86, v111, v86
	v_cvt_pk_f16_f32 v87, v112, v87
	v_pk_fma_f16 v104, v84, v108, v104
	v_pk_fma_f16 v105, v85, v108, v105
	v_pk_fma_f16 v99, v86, v108, v99
	v_pk_fma_f16 v100, v87, v108, v100
	global_load_dwordx4 v[84:87], v[88:89], off offset:128
	s_waitcnt vmcnt(0)
	v_lshlrev_b32_e32 v109, 16, v84
	v_and_b32_e32 v84, 0xffff0000, v84
	v_lshlrev_b32_e32 v110, 16, v85
	v_and_b32_e32 v85, 0xffff0000, v85
	v_lshlrev_b32_e32 v111, 16, v86
	v_and_b32_e32 v86, 0xffff0000, v86
	v_lshlrev_b32_e32 v112, 16, v87
	v_and_b32_e32 v87, 0xffff0000, v87
	v_cvt_pk_f16_f32 v84, v109, v84
	v_cvt_pk_f16_f32 v85, v110, v85
	v_cvt_pk_f16_f32 v86, v111, v86
	v_cvt_pk_f16_f32 v87, v112, v87
	v_pk_fma_f16 v90, v84, v108, v90
	v_pk_fma_f16 v101, v85, v108, v101
	v_pk_fma_f16 v102, v86, v108, v102
	v_pk_fma_f16 v103, v87, v108, v103
	global_load_dwordx4 v[84:87], v[88:89], off offset:256
	;; [unrolled: 18-line block ×3, first 2 shown]
	s_waitcnt vmcnt(0)
	v_lshlrev_b32_e32 v88, 16, v84
	v_and_b32_e32 v84, 0xffff0000, v84
	v_lshlrev_b32_e32 v89, 16, v85
	v_and_b32_e32 v85, 0xffff0000, v85
	v_cvt_pk_f16_f32 v84, v88, v84
	v_cvt_pk_f16_f32 v85, v89, v85
	v_lshlrev_b32_e32 v109, 16, v86
	v_and_b32_e32 v86, 0xffff0000, v86
	v_lshlrev_b32_e32 v110, 16, v87
	v_and_b32_e32 v87, 0xffff0000, v87
	v_pk_fma_f16 v98, v84, v108, v98
	v_pk_fma_f16 v97, v85, v108, v97
	v_lshl_add_u64 v[84:85], s[20:21], 0, v[52:53]
	v_cvt_pk_f16_f32 v86, v109, v86
	v_cvt_pk_f16_f32 v87, v110, v87
	v_lshl_add_u64 v[88:89], v[84:85], 0, v[38:39]
	v_pk_fma_f16 v96, v86, v108, v96
	v_pk_fma_f16 v95, v87, v108, v95
	global_load_dwordx4 v[84:87], v[88:89], off
	s_waitcnt vmcnt(0)
	v_lshlrev_b32_e32 v108, 16, v84
	v_and_b32_e32 v84, 0xffff0000, v84
	v_lshlrev_b32_e32 v109, 16, v85
	v_and_b32_e32 v85, 0xffff0000, v85
	v_lshlrev_b32_e32 v110, 16, v86
	v_and_b32_e32 v86, 0xffff0000, v86
	v_lshlrev_b32_e32 v111, 16, v87
	v_and_b32_e32 v87, 0xffff0000, v87
	v_cvt_pk_f16_f32 v84, v108, v84
	v_cvt_pk_f16_f32 v85, v109, v85
	v_cvt_pk_f16_f32 v86, v110, v86
	v_cvt_pk_f16_f32 v87, v111, v87
	v_pk_fma_f16 v104, v84, v106, v104
	v_pk_fma_f16 v105, v85, v106, v105
	v_pk_fma_f16 v99, v86, v106, v99
	v_pk_fma_f16 v100, v87, v106, v100
	global_load_dwordx4 v[84:87], v[88:89], off offset:128
	s_waitcnt vmcnt(0)
	v_lshlrev_b32_e32 v108, 16, v84
	v_and_b32_e32 v84, 0xffff0000, v84
	v_lshlrev_b32_e32 v109, 16, v85
	v_and_b32_e32 v85, 0xffff0000, v85
	v_lshlrev_b32_e32 v110, 16, v86
	v_and_b32_e32 v86, 0xffff0000, v86
	v_lshlrev_b32_e32 v111, 16, v87
	v_and_b32_e32 v87, 0xffff0000, v87
	v_cvt_pk_f16_f32 v84, v108, v84
	v_cvt_pk_f16_f32 v85, v109, v85
	v_cvt_pk_f16_f32 v86, v110, v86
	v_cvt_pk_f16_f32 v87, v111, v87
	v_pk_fma_f16 v90, v84, v106, v90
	v_pk_fma_f16 v101, v85, v106, v101
	v_pk_fma_f16 v102, v86, v106, v102
	v_pk_fma_f16 v103, v87, v106, v103
	global_load_dwordx4 v[84:87], v[88:89], off offset:256
	;; [unrolled: 18-line block ×3, first 2 shown]
	s_waitcnt vmcnt(0)
	v_lshlrev_b32_e32 v88, 16, v84
	v_and_b32_e32 v84, 0xffff0000, v84
	v_lshlrev_b32_e32 v89, 16, v85
	v_and_b32_e32 v85, 0xffff0000, v85
	v_cvt_pk_f16_f32 v84, v88, v84
	v_cvt_pk_f16_f32 v85, v89, v85
	v_lshlrev_b32_e32 v108, 16, v86
	v_and_b32_e32 v86, 0xffff0000, v86
	v_lshlrev_b32_e32 v109, 16, v87
	v_and_b32_e32 v87, 0xffff0000, v87
	v_pk_fma_f16 v98, v84, v106, v98
	v_pk_fma_f16 v97, v85, v106, v97
	v_lshl_add_u64 v[84:85], s[20:21], 0, v[54:55]
	v_cvt_pk_f16_f32 v86, v108, v86
	v_cvt_pk_f16_f32 v87, v109, v87
	v_lshl_add_u64 v[88:89], v[84:85], 0, v[38:39]
	v_pk_fma_f16 v96, v86, v106, v96
	v_pk_fma_f16 v95, v87, v106, v95
	global_load_dwordx4 v[84:87], v[88:89], off
	v_mul_u32_u24_e32 v106, 0x10001, v107
	s_waitcnt vmcnt(0)
	v_lshlrev_b32_e32 v107, 16, v84
	v_and_b32_e32 v84, 0xffff0000, v84
	v_lshlrev_b32_e32 v108, 16, v85
	v_and_b32_e32 v85, 0xffff0000, v85
	v_lshlrev_b32_e32 v109, 16, v86
	v_and_b32_e32 v86, 0xffff0000, v86
	v_lshlrev_b32_e32 v110, 16, v87
	v_and_b32_e32 v87, 0xffff0000, v87
	v_cvt_pk_f16_f32 v84, v107, v84
	v_cvt_pk_f16_f32 v85, v108, v85
	v_cvt_pk_f16_f32 v86, v109, v86
	v_cvt_pk_f16_f32 v87, v110, v87
	v_pk_fma_f16 v104, v84, v106, v104
	v_pk_fma_f16 v105, v85, v106, v105
	v_pk_fma_f16 v99, v86, v106, v99
	v_pk_fma_f16 v100, v87, v106, v100
	global_load_dwordx4 v[84:87], v[88:89], off offset:128
	s_waitcnt vmcnt(0)
	v_lshlrev_b32_e32 v107, 16, v84
	v_and_b32_e32 v84, 0xffff0000, v84
	v_lshlrev_b32_e32 v108, 16, v85
	v_and_b32_e32 v85, 0xffff0000, v85
	v_lshlrev_b32_e32 v109, 16, v86
	v_and_b32_e32 v86, 0xffff0000, v86
	v_lshlrev_b32_e32 v110, 16, v87
	v_and_b32_e32 v87, 0xffff0000, v87
	v_cvt_pk_f16_f32 v84, v107, v84
	v_cvt_pk_f16_f32 v85, v108, v85
	v_cvt_pk_f16_f32 v86, v109, v86
	v_cvt_pk_f16_f32 v87, v110, v87
	v_pk_fma_f16 v90, v84, v106, v90
	v_pk_fma_f16 v101, v85, v106, v101
	v_pk_fma_f16 v102, v86, v106, v102
	v_pk_fma_f16 v103, v87, v106, v103
	global_load_dwordx4 v[84:87], v[88:89], off offset:256
	;; [unrolled: 18-line block ×3, first 2 shown]
	s_waitcnt vmcnt(0)
	v_lshlrev_b32_e32 v88, 16, v84
	v_and_b32_e32 v84, 0xffff0000, v84
	v_lshlrev_b32_e32 v89, 16, v85
	v_and_b32_e32 v85, 0xffff0000, v85
	v_cvt_pk_f16_f32 v84, v88, v84
	v_cvt_pk_f16_f32 v85, v89, v85
	v_lshlrev_b32_e32 v107, 16, v86
	v_and_b32_e32 v86, 0xffff0000, v86
	v_lshlrev_b32_e32 v108, 16, v87
	v_and_b32_e32 v87, 0xffff0000, v87
	v_pk_fma_f16 v98, v84, v106, v98
	v_pk_fma_f16 v97, v85, v106, v97
	v_lshl_add_u64 v[84:85], s[20:21], 0, v[56:57]
	v_cvt_pk_f16_f32 v86, v107, v86
	v_cvt_pk_f16_f32 v87, v108, v87
	v_lshl_add_u64 v[88:89], v[84:85], 0, v[38:39]
	v_pk_fma_f16 v96, v86, v106, v96
	v_pk_fma_f16 v95, v87, v106, v95
	global_load_dwordx4 v[84:87], v[88:89], off
	s_waitcnt vmcnt(0)
	v_lshlrev_b32_e32 v106, 16, v84
	v_and_b32_e32 v84, 0xffff0000, v84
	v_lshlrev_b32_e32 v107, 16, v85
	v_and_b32_e32 v85, 0xffff0000, v85
	v_lshlrev_b32_e32 v108, 16, v86
	v_and_b32_e32 v86, 0xffff0000, v86
	v_lshlrev_b32_e32 v109, 16, v87
	v_and_b32_e32 v87, 0xffff0000, v87
	v_cvt_pk_f16_f32 v84, v106, v84
	v_cvt_pk_f16_f32 v85, v107, v85
	v_cvt_pk_f16_f32 v86, v108, v86
	v_cvt_pk_f16_f32 v87, v109, v87
	v_pk_fma_f16 v104, v84, v67, v104
	v_pk_fma_f16 v105, v85, v67, v105
	v_pk_fma_f16 v99, v86, v67, v99
	v_pk_fma_f16 v100, v87, v67, v100
	global_load_dwordx4 v[84:87], v[88:89], off offset:128
	s_waitcnt vmcnt(0)
	v_lshlrev_b32_e32 v106, 16, v84
	v_and_b32_e32 v84, 0xffff0000, v84
	v_lshlrev_b32_e32 v107, 16, v85
	v_and_b32_e32 v85, 0xffff0000, v85
	v_lshlrev_b32_e32 v108, 16, v86
	v_and_b32_e32 v86, 0xffff0000, v86
	v_lshlrev_b32_e32 v109, 16, v87
	v_and_b32_e32 v87, 0xffff0000, v87
	v_cvt_pk_f16_f32 v84, v106, v84
	v_cvt_pk_f16_f32 v85, v107, v85
	v_cvt_pk_f16_f32 v86, v108, v86
	v_cvt_pk_f16_f32 v87, v109, v87
	v_pk_fma_f16 v90, v84, v67, v90
	v_pk_fma_f16 v101, v85, v67, v101
	v_pk_fma_f16 v102, v86, v67, v102
	v_pk_fma_f16 v103, v87, v67, v103
	global_load_dwordx4 v[84:87], v[88:89], off offset:256
	;; [unrolled: 18-line block ×3, first 2 shown]
	s_waitcnt vmcnt(0)
	v_lshlrev_b32_e32 v88, 16, v84
	v_and_b32_e32 v84, 0xffff0000, v84
	v_lshlrev_b32_e32 v89, 16, v85
	v_and_b32_e32 v85, 0xffff0000, v85
	v_cvt_pk_f16_f32 v84, v88, v84
	v_cvt_pk_f16_f32 v85, v89, v85
	v_lshlrev_b32_e32 v106, 16, v86
	v_and_b32_e32 v86, 0xffff0000, v86
	v_lshlrev_b32_e32 v107, 16, v87
	v_and_b32_e32 v87, 0xffff0000, v87
	v_pk_fma_f16 v98, v84, v67, v98
	v_pk_fma_f16 v97, v85, v67, v97
	v_lshl_add_u64 v[84:85], s[20:21], 0, v[58:59]
	v_cvt_pk_f16_f32 v86, v106, v86
	v_cvt_pk_f16_f32 v87, v107, v87
	v_lshl_add_u64 v[88:89], v[84:85], 0, v[38:39]
	v_pk_fma_f16 v96, v86, v67, v96
	v_pk_fma_f16 v67, v87, v67, v95
	global_load_dwordx4 v[84:87], v[88:89], off
	s_waitcnt vmcnt(0)
	v_lshlrev_b32_e32 v95, 16, v84
	v_and_b32_e32 v84, 0xffff0000, v84
	v_lshlrev_b32_e32 v106, 16, v85
	v_and_b32_e32 v85, 0xffff0000, v85
	v_lshlrev_b32_e32 v107, 16, v86
	v_and_b32_e32 v86, 0xffff0000, v86
	v_lshlrev_b32_e32 v108, 16, v87
	v_and_b32_e32 v87, 0xffff0000, v87
	v_cvt_pk_f16_f32 v84, v95, v84
	v_cvt_pk_f16_f32 v85, v106, v85
	v_cvt_pk_f16_f32 v86, v107, v86
	v_cvt_pk_f16_f32 v87, v108, v87
	v_pk_fma_f16 v95, v84, v83, v104
	v_pk_fma_f16 v104, v85, v83, v105
	v_pk_fma_f16 v99, v86, v83, v99
	v_pk_fma_f16 v100, v87, v83, v100
	global_load_dwordx4 v[84:87], v[88:89], off offset:128
	s_waitcnt vmcnt(0)
	v_lshlrev_b32_e32 v105, 16, v84
	v_and_b32_e32 v84, 0xffff0000, v84
	v_lshlrev_b32_e32 v106, 16, v85
	v_and_b32_e32 v85, 0xffff0000, v85
	v_lshlrev_b32_e32 v107, 16, v86
	v_and_b32_e32 v86, 0xffff0000, v86
	v_lshlrev_b32_e32 v108, 16, v87
	v_and_b32_e32 v87, 0xffff0000, v87
	v_cvt_pk_f16_f32 v84, v105, v84
	v_cvt_pk_f16_f32 v85, v106, v85
	v_cvt_pk_f16_f32 v86, v107, v86
	v_cvt_pk_f16_f32 v87, v108, v87
	v_pk_fma_f16 v90, v84, v83, v90
	v_pk_fma_f16 v101, v85, v83, v101
	v_pk_fma_f16 v102, v86, v83, v102
	v_pk_fma_f16 v103, v87, v83, v103
	global_load_dwordx4 v[84:87], v[88:89], off offset:256
	;; [unrolled: 18-line block ×3, first 2 shown]
	s_waitcnt vmcnt(0)
	v_lshlrev_b32_e32 v88, 16, v84
	v_and_b32_e32 v84, 0xffff0000, v84
	v_lshlrev_b32_e32 v89, 16, v85
	v_and_b32_e32 v85, 0xffff0000, v85
	v_lshlrev_b32_e32 v105, 16, v86
	v_and_b32_e32 v86, 0xffff0000, v86
	v_lshlrev_b32_e32 v106, 16, v87
	v_and_b32_e32 v87, 0xffff0000, v87
	v_cvt_pk_f16_f32 v84, v88, v84
	v_cvt_pk_f16_f32 v85, v89, v85
	;; [unrolled: 1-line block ×4, first 2 shown]
	v_pk_fma_f16 v88, v84, v83, v98
	v_pk_fma_f16 v89, v85, v83, v97
	;; [unrolled: 1-line block ×4, first 2 shown]
	v_mul_u32_u24_e32 v97, 0x10001, v66
	v_lshl_add_u64 v[66:67], s[20:21], 0, v[60:61]
	v_lshl_add_u64 v[66:67], v[66:67], 0, v[38:39]
	global_load_dwordx4 v[84:87], v[66:67], off
	s_waitcnt vmcnt(0)
	v_lshlrev_b32_e32 v98, 16, v84
	v_and_b32_e32 v84, 0xffff0000, v84
	v_lshlrev_b32_e32 v105, 16, v85
	v_and_b32_e32 v85, 0xffff0000, v85
	v_lshlrev_b32_e32 v106, 16, v86
	v_and_b32_e32 v86, 0xffff0000, v86
	v_lshlrev_b32_e32 v107, 16, v87
	v_and_b32_e32 v87, 0xffff0000, v87
	v_cvt_pk_f16_f32 v84, v98, v84
	v_cvt_pk_f16_f32 v85, v105, v85
	v_cvt_pk_f16_f32 v86, v106, v86
	v_cvt_pk_f16_f32 v87, v107, v87
	v_pk_fma_f16 v95, v84, v97, v95
	v_pk_fma_f16 v98, v85, v97, v104
	v_pk_fma_f16 v99, v86, v97, v99
	v_pk_fma_f16 v100, v87, v97, v100
	global_load_dwordx4 v[84:87], v[66:67], off offset:128
	s_waitcnt vmcnt(0)
	v_lshlrev_b32_e32 v104, 16, v84
	v_and_b32_e32 v84, 0xffff0000, v84
	v_lshlrev_b32_e32 v105, 16, v85
	v_and_b32_e32 v85, 0xffff0000, v85
	v_lshlrev_b32_e32 v106, 16, v86
	v_and_b32_e32 v86, 0xffff0000, v86
	v_lshlrev_b32_e32 v107, 16, v87
	v_and_b32_e32 v87, 0xffff0000, v87
	v_cvt_pk_f16_f32 v84, v104, v84
	v_cvt_pk_f16_f32 v85, v105, v85
	v_cvt_pk_f16_f32 v86, v106, v86
	v_cvt_pk_f16_f32 v87, v107, v87
	v_pk_fma_f16 v104, v84, v97, v90
	v_pk_fma_f16 v101, v85, v97, v101
	v_pk_fma_f16 v102, v86, v97, v102
	v_pk_fma_f16 v103, v87, v97, v103
	global_load_dwordx4 v[84:87], v[66:67], off offset:256
	;; [unrolled: 18-line block ×3, first 2 shown]
	s_waitcnt vmcnt(0)
	v_lshlrev_b32_e32 v66, 16, v84
	v_and_b32_e32 v67, 0xffff0000, v84
	v_lshlrev_b32_e32 v84, 16, v85
	v_and_b32_e32 v85, 0xffff0000, v85
	v_cvt_pk_f16_f32 v66, v66, v67
	v_cvt_pk_f16_f32 v67, v84, v85
	v_lshlrev_b32_e32 v90, 16, v86
	v_and_b32_e32 v86, 0xffff0000, v86
	v_lshlrev_b32_e32 v91, 16, v87
	v_and_b32_e32 v87, 0xffff0000, v87
	v_pk_fma_f16 v109, v66, v97, v88
	v_pk_fma_f16 v110, v67, v97, v89
	v_lshl_add_u64 v[66:67], s[20:21], 0, v[62:63]
	v_cvt_pk_f16_f32 v84, v90, v86
	v_cvt_pk_f16_f32 v85, v91, v87
	v_lshl_add_u64 v[66:67], v[66:67], 0, v[38:39]
	v_pk_fma_f16 v111, v84, v97, v96
	v_pk_fma_f16 v112, v85, v97, v83
	global_load_dwordx4 v[84:87], v[66:67], off
	s_add_u32 s20, s20, s39
	s_addc_u32 s21, s21, 0
	s_lshl_b64 s[12:13], s[26:27], 1
	s_add_u32 s18, s18, s12
	s_addc_u32 s19, s19, s13
	s_cmp_ge_i32 s16, s42
	s_waitcnt vmcnt(0)
	v_lshlrev_b32_e32 v83, 16, v84
	v_and_b32_e32 v84, 0xffff0000, v84
	v_lshlrev_b32_e32 v88, 16, v85
	v_and_b32_e32 v85, 0xffff0000, v85
	;; [unrolled: 2-line block ×4, first 2 shown]
	v_cvt_pk_f16_f32 v83, v83, v84
	v_cvt_pk_f16_f32 v84, v88, v85
	;; [unrolled: 1-line block ×4, first 2 shown]
	global_load_dwordx4 v[88:91], v[66:67], off offset:128
	v_pk_fma_f16 v86, v84, v65, v98
	v_pk_fma_f16 v84, v85, v65, v99
	;; [unrolled: 1-line block ×4, first 2 shown]
	s_waitcnt vmcnt(0)
	v_lshlrev_b32_e32 v87, 16, v88
	v_and_b32_e32 v88, 0xffff0000, v88
	v_lshlrev_b32_e32 v92, 16, v89
	v_and_b32_e32 v89, 0xffff0000, v89
	;; [unrolled: 2-line block ×4, first 2 shown]
	v_cvt_pk_f16_f32 v87, v87, v88
	v_cvt_pk_f16_f32 v88, v92, v89
	;; [unrolled: 1-line block ×4, first 2 shown]
	v_pk_fma_f16 v89, v88, v65, v101
	v_pk_fma_f16 v88, v92, v65, v102
	global_load_dwordx4 v[92:95], v[66:67], off offset:256
	v_pk_fma_f16 v90, v87, v65, v104
	v_pk_fma_f16 v87, v91, v65, v103
	s_waitcnt vmcnt(0)
	v_lshlrev_b32_e32 v91, 16, v92
	v_and_b32_e32 v92, 0xffff0000, v92
	v_lshlrev_b32_e32 v96, 16, v93
	v_and_b32_e32 v93, 0xffff0000, v93
	;; [unrolled: 2-line block ×4, first 2 shown]
	v_cvt_pk_f16_f32 v91, v91, v92
	v_cvt_pk_f16_f32 v92, v96, v93
	;; [unrolled: 1-line block ×4, first 2 shown]
	v_pk_fma_f16 v93, v92, v65, v106
	v_pk_fma_f16 v92, v96, v65, v107
	global_load_dwordx4 v[96:99], v[66:67], off offset:384
	v_pk_fma_f16 v94, v91, v65, v105
	v_pk_fma_f16 v91, v95, v65, v108
	s_waitcnt vmcnt(0)
	v_lshlrev_b32_e32 v66, 16, v96
	v_and_b32_e32 v67, 0xffff0000, v96
	v_lshlrev_b32_e32 v95, 16, v97
	v_and_b32_e32 v96, 0xffff0000, v97
	;; [unrolled: 2-line block ×4, first 2 shown]
	v_cvt_pk_f16_f32 v66, v66, v67
	v_cvt_pk_f16_f32 v67, v95, v96
	;; [unrolled: 1-line block ×4, first 2 shown]
	v_pk_fma_f16 v98, v66, v65, v109
	v_pk_fma_f16 v97, v67, v65, v110
	;; [unrolled: 1-line block ×4, first 2 shown]
	s_cbranch_scc1 .LBB23_26
; %bb.24:                               ;   in Loop: Header=BB23_15 Depth=1
	v_mov_b32_e32 v99, v64
	s_branch .LBB23_15
.LBB23_25:
	v_mov_b32_e32 v83, 0
	v_mov_b32_e32 v64, 0xfeffffff
	;; [unrolled: 1-line block ×17, first 2 shown]
.LBB23_26:
	s_cmp_lg_u64 s[24:25], 0
	v_or_b32_e32 v0, s3, v35
	s_cselect_b64 s[4:5], -1, 0
	v_cmp_eq_u32_e32 vcc, 0, v0
	s_and_b64 s[6:7], vcc, s[4:5]
	s_and_saveexec_b64 s[4:5], s[6:7]
	s_cbranch_execz .LBB23_28
; %bb.27:
	s_lshl_b64 s[6:7], s[40:41], 2
	s_add_u32 s6, s24, s6
	s_addc_u32 s7, s25, s7
	s_load_dword s6, s[6:7], 0x0
	v_max_f32_e32 v0, v64, v64
	s_mov_b32 s7, 0x3fb8aa3b
	s_mov_b32 s8, 0x42b17218
	s_waitcnt lgkmcnt(0)
	v_max_f32_e64 v1, s6, s6
	v_max_f32_e32 v0, v0, v1
	v_sub_f32_e32 v1, s6, v0
	v_mul_f32_e32 v2, 0x3fb8aa3b, v1
	v_fma_f32 v3, v1, s7, -v2
	v_rndne_f32_e32 v4, v2
	v_fmac_f32_e32 v3, 0x32a5705f, v1
	v_sub_f32_e32 v2, v2, v4
	v_add_f32_e32 v2, v2, v3
	v_cvt_i32_f32_e32 v3, v4
	v_exp_f32_e32 v2, v2
	s_mov_b32 s6, 0xc2ce8ed0
	v_cmp_ngt_f32_e32 vcc, s6, v1
	v_ldexp_f32 v2, v2, v3
	v_sub_f32_e32 v3, v64, v0
	v_mul_f32_e32 v4, 0x3fb8aa3b, v3
	v_fma_f32 v5, v3, s7, -v4
	v_rndne_f32_e32 v6, v4
	v_fmac_f32_e32 v5, 0x32a5705f, v3
	v_sub_f32_e32 v4, v4, v6
	v_add_f32_e32 v4, v4, v5
	v_exp_f32_e32 v4, v4
	v_cvt_i32_f32_e32 v5, v6
	v_cndmask_b32_e32 v2, 0, v2, vcc
	v_mov_b32_e32 v6, 0x7f800000
	v_cmp_nlt_f32_e32 vcc, s8, v1
	v_mov_b32_e32 v64, v0
	s_nop 0
	v_cndmask_b32_e32 v1, v6, v2, vcc
	v_ldexp_f32 v2, v4, v5
	v_cmp_ngt_f32_e32 vcc, s6, v3
	s_nop 1
	v_cndmask_b32_e32 v2, 0, v2, vcc
	v_cmp_nlt_f32_e32 vcc, s8, v3
	s_nop 1
	v_cndmask_b32_e32 v2, v6, v2, vcc
	v_cvt_f16_f32_e32 v3, v2
	v_cmp_eq_u32_e32 vcc, 0, v68
	s_nop 1
	v_cndmask_b32_e32 v1, 0, v1, vcc
	v_fmac_f32_e32 v1, v73, v2
	v_mul_u32_u24_e32 v2, 0x10001, v3
	v_pk_mul_f16 v83, v83, v2
	v_pk_mul_f16 v86, v86, v2
	;; [unrolled: 1-line block ×16, first 2 shown]
	v_mov_b32_e32 v73, v1
.LBB23_28:
	s_or_b64 exec, exec, s[4:5]
	s_and_saveexec_b64 s[4:5], s[14:15]
; %bb.29:
	v_mov_b32_e32 v0, 0xfeffffff
	v_mov_b32_e32 v1, 0
	v_add_u32_e32 v2, 0x2000, v72
	ds_write2_b32 v2, v0, v1 offset1:32
; %bb.30:
	s_or_b64 exec, exec, s[4:5]
	v_cmp_eq_u32_e32 vcc, 0, v68
	v_lshlrev_b32_e32 v6, 2, v35
	s_waitcnt lgkmcnt(0)
	s_barrier
	s_and_saveexec_b64 s[4:5], vcc
; %bb.31:
	ds_write_b32 v6, v64 offset:8192
; %bb.32:
	s_or_b64 exec, exec, s[4:5]
	v_mbcnt_hi_u32_b32 v0, -1, v69
	s_waitcnt lgkmcnt(0)
	s_barrier
	v_and_b32_e32 v1, 0x60, v0
	ds_read_b32 v3, v72 offset:8192
	v_add_u32_e32 v5, 32, v1
	v_xor_b32_e32 v1, 16, v0
	v_cmp_lt_i32_e64 s[4:5], v1, v5
	v_xor_b32_e32 v2, 8, v0
	v_xor_b32_e32 v9, 1, v0
	v_cndmask_b32_e64 v1, v0, v1, s[4:5]
	v_lshlrev_b32_e32 v1, 2, v1
	s_waitcnt lgkmcnt(0)
	ds_bpermute_b32 v4, v1, v3
	v_cmp_lt_i32_e64 s[4:5], v2, v5
	v_max_f32_e32 v3, v3, v3
	s_load_dword s6, s[0:1], 0xd4
	v_cndmask_b32_e64 v2, v0, v2, s[4:5]
	s_waitcnt lgkmcnt(0)
	v_max_f32_e32 v4, v4, v4
	v_lshlrev_b32_e32 v2, 2, v2
	v_max_f32_e32 v4, v3, v4
	ds_bpermute_b32 v7, v2, v4
	v_xor_b32_e32 v3, 4, v0
	v_cmp_lt_i32_e64 s[4:5], v3, v5
	s_waitcnt lgkmcnt(0)
	v_max_f32_e32 v7, v7, v7
	v_cndmask_b32_e64 v3, v0, v3, s[4:5]
	v_lshlrev_b32_e32 v3, 2, v3
	v_max_f32_e32 v7, v4, v7
	ds_bpermute_b32 v8, v3, v7
	v_xor_b32_e32 v4, 2, v0
	v_cmp_lt_i32_e64 s[4:5], v4, v5
	s_waitcnt lgkmcnt(0)
	v_max_f32_e32 v8, v8, v8
	v_cndmask_b32_e64 v4, v0, v4, s[4:5]
	v_lshlrev_b32_e32 v4, 2, v4
	v_max_f32_e32 v7, v7, v8
	ds_bpermute_b32 v8, v4, v7
	v_cmp_lt_i32_e64 s[4:5], v9, v5
	s_nop 1
	v_cndmask_b32_e64 v0, v0, v9, s[4:5]
	v_lshlrev_b32_e32 v5, 2, v0
	s_waitcnt lgkmcnt(0)
	v_max_f32_e32 v0, v8, v8
	v_max_f32_e32 v0, v7, v0
	ds_bpermute_b32 v7, v5, v0
	s_mov_b32 s4, 0x3fb8aa3b
	s_waitcnt lgkmcnt(0)
	v_max_f32_e32 v7, v7, v7
	v_max_f32_e32 v0, v0, v7
	v_sub_f32_e32 v7, v64, v0
	v_mul_f32_e32 v8, 0x3fb8aa3b, v7
	v_fma_f32 v9, v7, s4, -v8
	v_rndne_f32_e32 v10, v8
	v_fmamk_f32 v9, v7, 0x32a5705f, v9
	v_sub_f32_e32 v8, v8, v10
	v_add_f32_e32 v8, v8, v9
	v_exp_f32_e32 v8, v8
	v_cvt_i32_f32_e32 v9, v10
	s_mov_b32 s4, 0xc2ce8ed0
	v_cmp_ngt_f32_e64 s[4:5], s4, v7
	v_ldexp_f32 v8, v8, v9
	s_nop 0
	v_cndmask_b32_e64 v8, 0, v8, s[4:5]
	s_mov_b32 s4, 0x42b17218
	v_mov_b32_e32 v9, 0x7f800000
	v_cmp_nlt_f32_e64 s[4:5], s4, v7
	s_nop 1
	v_cndmask_b32_e64 v7, v9, v8, s[4:5]
	v_mul_f32_e32 v20, v73, v7
	ds_bpermute_b32 v20, v1, v20
	v_cvt_f16_f32_e32 v8, v7
	s_add_u32 s4, s0, 0xd0
	s_movk_i32 s0, 0x70
	s_addc_u32 s5, s1, 0
	s_waitcnt lgkmcnt(0)
	v_fmac_f32_e32 v20, v73, v7
	ds_bpermute_b32 v7, v2, v20
	v_mul_u32_u24_e32 v8, 0x10001, v8
	v_pk_mul_f16 v9, v83, v8
	v_pk_mul_f16 v10, v86, v8
	;; [unrolled: 1-line block ×3, first 2 shown]
	s_waitcnt lgkmcnt(0)
	v_add_f32_e32 v7, v20, v7
	ds_bpermute_b32 v20, v3, v7
	v_pk_mul_f16 v12, v85, v8
	v_pk_mul_f16 v13, v90, v8
	;; [unrolled: 1-line block ×13, first 2 shown]
	v_lshlrev_b32_e32 v8, 6, v68
	v_and_b32_e32 v8, 0x1e00, v8
	v_lshl_add_u32 v8, v35, 11, v8
	s_waitcnt lgkmcnt(0)
	v_add_f32_e32 v7, v7, v20
	v_and_or_b32 v16, v16, s0, v8
	ds_bpermute_b32 v8, v4, v7
	ds_write2_b32 v16, v10, v11 offset0:1 offset1:2
	ds_write2_b32 v16, v9, v12 offset1:3
	ds_write2_b32 v16, v14, v15 offset0:33 offset1:34
	ds_write2_b32 v16, v13, v18 offset0:32 offset1:35
	;; [unrolled: 1-line block ×6, first 2 shown]
	s_waitcnt lgkmcnt(8)
	v_add_f32_e32 v7, v7, v8
	ds_bpermute_b32 v8, v5, v7
	s_and_saveexec_b64 s[0:1], vcc
	s_cbranch_execz .LBB23_34
; %bb.33:
	s_waitcnt lgkmcnt(0)
	v_add_f32_e32 v7, v7, v8
	ds_write_b32 v6, v7 offset:8320
.LBB23_34:
	s_or_b64 exec, exec, s[0:1]
	s_waitcnt lgkmcnt(0)
	s_barrier
	ds_read_b32 v6, v72 offset:8320
	ds_read_u16 v7, v70
	ds_read_u16 v8, v70 offset:1280
	ds_read_u16 v9, v70 offset:768
	;; [unrolled: 1-line block ×3, first 2 shown]
	s_waitcnt lgkmcnt(4)
	ds_bpermute_b32 v1, v1, v6
	s_mul_i32 s0, s33, s34
	s_add_i32 s0, s0, s2
	s_mul_i32 s2, s0, s35
	s_add_i32 s2, s2, s40
	s_waitcnt lgkmcnt(0)
	v_add_f32_e32 v1, v6, v1
	ds_bpermute_b32 v2, v2, v1
	ds_read_u16 v6, v70 offset:512
	ds_read_u16 v11, v70 offset:1024
	;; [unrolled: 1-line block ×3, first 2 shown]
	s_mul_i32 s0, s6, s2
	s_add_i32 s7, s0, s3
	s_cmp_eq_u32 s6, 1
	s_waitcnt lgkmcnt(3)
	v_add_f32_e32 v1, v1, v2
	ds_bpermute_b32 v2, v3, v1
	v_cvt_f32_f16_e32 v3, v7
	s_waitcnt lgkmcnt(1)
	v_cvt_f32_f16_e32 v7, v12
	v_cvt_f32_f16_e32 v10, v10
	v_cvt_f32_f16_e32 v8, v8
	s_waitcnt lgkmcnt(0)
	v_add_f32_e32 v1, v1, v2
	ds_bpermute_b32 v2, v4, v1
	v_cvt_f32_f16_e32 v4, v6
	v_cvt_f32_f16_e32 v6, v11
	v_add_f32_e32 v3, 0, v3
	s_waitcnt lgkmcnt(0)
	v_add_f32_e32 v1, v1, v2
	ds_bpermute_b32 v2, v5, v1
	v_add_f32_e32 v3, v3, v4
	v_add_f32_e32 v3, v3, v6
	s_waitcnt lgkmcnt(0)
	v_add_f32_e32 v1, v1, v2
	v_add_f32_e32 v2, v3, v7
	ds_read_u16 v3, v70 offset:2048
	ds_read_u16 v4, v70 offset:2560
	ds_read_u16 v5, v70 offset:3072
	ds_read_u16 v6, v70 offset:3584
	ds_read_u16 v7, v70 offset:3328
	ds_read_u16 v11, v70 offset:2816
	ds_read_u16 v12, v70 offset:2304
	ds_read_u16 v13, v70 offset:1792
	s_waitcnt lgkmcnt(7)
	v_cvt_f32_f16_e32 v3, v3
	s_waitcnt lgkmcnt(6)
	v_cvt_f32_f16_e32 v4, v4
	s_waitcnt lgkmcnt(5)
	v_cvt_f32_f16_e32 v5, v5
	s_waitcnt lgkmcnt(4)
	v_cvt_f32_f16_e32 v6, v6
	v_add_f32_e32 v2, v2, v3
	v_add_f32_e32 v2, v2, v4
	v_add_f32_e32 v2, v2, v5
	v_add_f32_e32 v2, v2, v6
	ds_read_u16 v3, v70 offset:4096
	ds_read_u16 v4, v70 offset:4608
	ds_read_u16 v5, v70 offset:5120
	ds_read_u16 v6, v70 offset:5632
	ds_read_u16 v14, v70 offset:5376
	ds_read_u16 v15, v70 offset:4864
	ds_read_u16 v16, v70 offset:4352
	ds_read_u16 v18, v70 offset:3840
	s_waitcnt lgkmcnt(7)
	v_cvt_f32_f16_e32 v3, v3
	s_waitcnt lgkmcnt(6)
	v_cvt_f32_f16_e32 v4, v4
	s_waitcnt lgkmcnt(5)
	v_cvt_f32_f16_e32 v5, v5
	s_waitcnt lgkmcnt(4)
	v_cvt_f32_f16_e32 v6, v6
	v_add_f32_e32 v2, v2, v3
	v_add_f32_e32 v2, v2, v4
	;; [unrolled: 20-line block ×3, first 2 shown]
	v_add_f32_e32 v2, v2, v5
	v_add_f32_e32 v3, v2, v6
	v_div_scale_f32 v6, s[0:1], v1, v1, v3
	v_rcp_f32_e32 v23, v6
	s_cselect_b64 s[0:1], -1, 0
	v_cvt_f32_f16_e32 v7, v7
	v_lshl_or_b32 v2, s7, 8, v17
	v_fma_f32 v24, -v6, v23, 1.0
	v_fmac_f32_e32 v23, v24, v23
	v_div_scale_f32 v24, vcc, v3, v1, v3
	v_mul_f32_e32 v25, v24, v23
	v_fma_f32 v26, -v6, v25, v24
	v_fmac_f32_e32 v25, v26, v23
	v_fma_f32 v6, -v6, v25, v24
	v_div_fmas_f32 v6, v6, v23, v25
	v_div_fixup_f32 v6, v6, v1, v3
	v_cndmask_b32_e64 v6, v3, v6, s[0:1]
	v_cvt_f32_f16_e32 v3, v9
	v_add_f32_e32 v9, 0, v10
	v_cvt_f32_f16_e32 v10, v13
	v_mov_b32_e32 v4, s28
	v_add_f32_e32 v3, v9, v3
	v_add_f32_e32 v3, v3, v8
	v_cvt_f32_f16_e32 v8, v12
	v_cvt_f32_f16_e32 v9, v11
	v_add_f32_e32 v3, v3, v10
	s_waitcnt lgkmcnt(3)
	v_cvt_f32_f16_e32 v10, v19
	v_add_f32_e32 v3, v3, v8
	v_cvt_f32_f16_e32 v8, v18
	v_add_f32_e32 v3, v3, v9
	v_add_f32_e32 v3, v3, v7
	v_cvt_f32_f16_e32 v7, v16
	v_add_f32_e32 v3, v3, v8
	v_cvt_f32_f16_e32 v8, v15
	v_cvt_f32_f16_e32 v9, v14
	v_add_f32_e32 v3, v3, v7
	s_waitcnt lgkmcnt(0)
	v_cvt_f32_f16_e32 v7, v22
	v_add_f32_e32 v3, v3, v8
	ds_read_u16 v8, v70 offset:7936
	v_add_f32_e32 v3, v3, v9
	v_add_f32_e32 v3, v3, v7
	v_cvt_f32_f16_e32 v7, v21
	v_cvt_f32_f16_e32 v9, v20
	s_waitcnt lgkmcnt(0)
	v_cvt_f32_f16_e32 v8, v8
	v_mov_b32_e32 v5, s29
	v_add_f32_e32 v3, v3, v7
	v_add_f32_e32 v3, v3, v9
	;; [unrolled: 1-line block ×4, first 2 shown]
	v_div_scale_f32 v8, s[6:7], v1, v1, v7
	v_rcp_f32_e32 v9, v8
	v_mov_b32_e32 v3, 0
	v_lshl_add_u64 v[4:5], v[2:3], 2, v[4:5]
	global_store_dword v[4:5], v6, off
	v_fma_f32 v2, -v8, v9, 1.0
	v_fmac_f32_e32 v9, v2, v9
	v_div_scale_f32 v2, vcc, v7, v1, v7
	v_mul_f32_e32 v6, v2, v9
	v_fma_f32 v10, -v8, v6, v2
	v_fmac_f32_e32 v6, v10, v9
	v_fma_f32 v2, -v8, v6, v2
	v_div_fmas_f32 v2, v2, v9, v6
	v_div_fixup_f32 v2, v2, v1, v7
	v_cndmask_b32_e64 v2, v7, v2, s[0:1]
	global_store_dword v[4:5], v2, off offset:512
	s_load_dword s0, s[4:5], 0x4
	v_cmp_eq_u32_e32 vcc, 0, v17
	s_waitcnt lgkmcnt(0)
	s_cmp_lg_u32 s0, 1
	s_cselect_b64 s[4:5], -1, 0
	s_and_b64 s[4:5], vcc, s[4:5]
	s_and_saveexec_b64 s[6:7], s[4:5]
	s_cbranch_execz .LBB23_36
; %bb.35:
	s_mul_i32 s0, s0, s2
	s_add_i32 s0, s0, s3
	s_mov_b32 s1, 0
	s_lshl_b64 s[0:1], s[0:1], 3
	s_add_u32 s0, s30, s0
	s_addc_u32 s1, s31, s1
	global_store_dwordx2 v3, v[0:1], s[0:1]
.LBB23_36:
	s_endpgm
	.section	.rodata,"a",@progbits
	.p2align	6, 0x0
	.amdhsa_kernel _ZL18flash_attn_ext_vecILi256ELi1EL9ggml_type3ELS0_30ELb0EEvPKcS2_S2_S2_S2_PKiPfP15HIP_vector_typeIfLj2EEffffjfiS6_IjLj3EEiiiiiiiiiiiliiliiiiil
		.amdhsa_group_segment_fixed_size 8448
		.amdhsa_private_segment_fixed_size 0
		.amdhsa_kernarg_size 464
		.amdhsa_user_sgpr_count 2
		.amdhsa_user_sgpr_dispatch_ptr 0
		.amdhsa_user_sgpr_queue_ptr 0
		.amdhsa_user_sgpr_kernarg_segment_ptr 1
		.amdhsa_user_sgpr_dispatch_id 0
		.amdhsa_user_sgpr_kernarg_preload_length 0
		.amdhsa_user_sgpr_kernarg_preload_offset 0
		.amdhsa_user_sgpr_private_segment_size 0
		.amdhsa_uses_dynamic_stack 0
		.amdhsa_enable_private_segment 0
		.amdhsa_system_sgpr_workgroup_id_x 1
		.amdhsa_system_sgpr_workgroup_id_y 1
		.amdhsa_system_sgpr_workgroup_id_z 1
		.amdhsa_system_sgpr_workgroup_info 0
		.amdhsa_system_vgpr_workitem_id 1
		.amdhsa_next_free_vgpr 113
		.amdhsa_next_free_sgpr 56
		.amdhsa_accum_offset 116
		.amdhsa_reserve_vcc 1
		.amdhsa_float_round_mode_32 0
		.amdhsa_float_round_mode_16_64 0
		.amdhsa_float_denorm_mode_32 3
		.amdhsa_float_denorm_mode_16_64 3
		.amdhsa_dx10_clamp 1
		.amdhsa_ieee_mode 1
		.amdhsa_fp16_overflow 0
		.amdhsa_tg_split 0
		.amdhsa_exception_fp_ieee_invalid_op 0
		.amdhsa_exception_fp_denorm_src 0
		.amdhsa_exception_fp_ieee_div_zero 0
		.amdhsa_exception_fp_ieee_overflow 0
		.amdhsa_exception_fp_ieee_underflow 0
		.amdhsa_exception_fp_ieee_inexact 0
		.amdhsa_exception_int_div_zero 0
	.end_amdhsa_kernel
	.section	.text._ZL18flash_attn_ext_vecILi256ELi1EL9ggml_type3ELS0_30ELb0EEvPKcS2_S2_S2_S2_PKiPfP15HIP_vector_typeIfLj2EEffffjfiS6_IjLj3EEiiiiiiiiiiiliiliiiiil,"axG",@progbits,_ZL18flash_attn_ext_vecILi256ELi1EL9ggml_type3ELS0_30ELb0EEvPKcS2_S2_S2_S2_PKiPfP15HIP_vector_typeIfLj2EEffffjfiS6_IjLj3EEiiiiiiiiiiiliiliiiiil,comdat
.Lfunc_end23:
	.size	_ZL18flash_attn_ext_vecILi256ELi1EL9ggml_type3ELS0_30ELb0EEvPKcS2_S2_S2_S2_PKiPfP15HIP_vector_typeIfLj2EEffffjfiS6_IjLj3EEiiiiiiiiiiiliiliiiiil, .Lfunc_end23-_ZL18flash_attn_ext_vecILi256ELi1EL9ggml_type3ELS0_30ELb0EEvPKcS2_S2_S2_S2_PKiPfP15HIP_vector_typeIfLj2EEffffjfiS6_IjLj3EEiiiiiiiiiiiliiliiiiil
                                        ; -- End function
	.set _ZL18flash_attn_ext_vecILi256ELi1EL9ggml_type3ELS0_30ELb0EEvPKcS2_S2_S2_S2_PKiPfP15HIP_vector_typeIfLj2EEffffjfiS6_IjLj3EEiiiiiiiiiiiliiliiiiil.num_vgpr, 113
	.set _ZL18flash_attn_ext_vecILi256ELi1EL9ggml_type3ELS0_30ELb0EEvPKcS2_S2_S2_S2_PKiPfP15HIP_vector_typeIfLj2EEffffjfiS6_IjLj3EEiiiiiiiiiiiliiliiiiil.num_agpr, 0
	.set _ZL18flash_attn_ext_vecILi256ELi1EL9ggml_type3ELS0_30ELb0EEvPKcS2_S2_S2_S2_PKiPfP15HIP_vector_typeIfLj2EEffffjfiS6_IjLj3EEiiiiiiiiiiiliiliiiiil.numbered_sgpr, 56
	.set _ZL18flash_attn_ext_vecILi256ELi1EL9ggml_type3ELS0_30ELb0EEvPKcS2_S2_S2_S2_PKiPfP15HIP_vector_typeIfLj2EEffffjfiS6_IjLj3EEiiiiiiiiiiiliiliiiiil.num_named_barrier, 0
	.set _ZL18flash_attn_ext_vecILi256ELi1EL9ggml_type3ELS0_30ELb0EEvPKcS2_S2_S2_S2_PKiPfP15HIP_vector_typeIfLj2EEffffjfiS6_IjLj3EEiiiiiiiiiiiliiliiiiil.private_seg_size, 0
	.set _ZL18flash_attn_ext_vecILi256ELi1EL9ggml_type3ELS0_30ELb0EEvPKcS2_S2_S2_S2_PKiPfP15HIP_vector_typeIfLj2EEffffjfiS6_IjLj3EEiiiiiiiiiiiliiliiiiil.uses_vcc, 1
	.set _ZL18flash_attn_ext_vecILi256ELi1EL9ggml_type3ELS0_30ELb0EEvPKcS2_S2_S2_S2_PKiPfP15HIP_vector_typeIfLj2EEffffjfiS6_IjLj3EEiiiiiiiiiiiliiliiiiil.uses_flat_scratch, 0
	.set _ZL18flash_attn_ext_vecILi256ELi1EL9ggml_type3ELS0_30ELb0EEvPKcS2_S2_S2_S2_PKiPfP15HIP_vector_typeIfLj2EEffffjfiS6_IjLj3EEiiiiiiiiiiiliiliiiiil.has_dyn_sized_stack, 0
	.set _ZL18flash_attn_ext_vecILi256ELi1EL9ggml_type3ELS0_30ELb0EEvPKcS2_S2_S2_S2_PKiPfP15HIP_vector_typeIfLj2EEffffjfiS6_IjLj3EEiiiiiiiiiiiliiliiiiil.has_recursion, 0
	.set _ZL18flash_attn_ext_vecILi256ELi1EL9ggml_type3ELS0_30ELb0EEvPKcS2_S2_S2_S2_PKiPfP15HIP_vector_typeIfLj2EEffffjfiS6_IjLj3EEiiiiiiiiiiiliiliiiiil.has_indirect_call, 0
	.section	.AMDGPU.csdata,"",@progbits
; Kernel info:
; codeLenInByte = 15380
; TotalNumSgprs: 62
; NumVgprs: 113
; NumAgprs: 0
; TotalNumVgprs: 113
; ScratchSize: 0
; MemoryBound: 0
; FloatMode: 240
; IeeeMode: 1
; LDSByteSize: 8448 bytes/workgroup (compile time only)
; SGPRBlocks: 7
; VGPRBlocks: 14
; NumSGPRsForWavesPerEU: 62
; NumVGPRsForWavesPerEU: 113
; AccumOffset: 116
; Occupancy: 4
; WaveLimiterHint : 1
; COMPUTE_PGM_RSRC2:SCRATCH_EN: 0
; COMPUTE_PGM_RSRC2:USER_SGPR: 2
; COMPUTE_PGM_RSRC2:TRAP_HANDLER: 0
; COMPUTE_PGM_RSRC2:TGID_X_EN: 1
; COMPUTE_PGM_RSRC2:TGID_Y_EN: 1
; COMPUTE_PGM_RSRC2:TGID_Z_EN: 1
; COMPUTE_PGM_RSRC2:TIDIG_COMP_CNT: 1
; COMPUTE_PGM_RSRC3_GFX90A:ACCUM_OFFSET: 28
; COMPUTE_PGM_RSRC3_GFX90A:TG_SPLIT: 0
	.section	.text._ZL33flash_attn_stream_k_fixup_uniformILi256ELi1ELi1EEvPfPK15HIP_vector_typeIfLj2EEiiiiiiS1_IjLj3EES5_S5_,"axG",@progbits,_ZL33flash_attn_stream_k_fixup_uniformILi256ELi1ELi1EEvPfPK15HIP_vector_typeIfLj2EEiiiiiiS1_IjLj3EES5_S5_,comdat
	.globl	_ZL33flash_attn_stream_k_fixup_uniformILi256ELi1ELi1EEvPfPK15HIP_vector_typeIfLj2EEiiiiiiS1_IjLj3EES5_S5_ ; -- Begin function _ZL33flash_attn_stream_k_fixup_uniformILi256ELi1ELi1EEvPfPK15HIP_vector_typeIfLj2EEiiiiiiS1_IjLj3EES5_S5_
	.p2align	8
	.type	_ZL33flash_attn_stream_k_fixup_uniformILi256ELi1ELi1EEvPfPK15HIP_vector_typeIfLj2EEiiiiiiS1_IjLj3EES5_S5_,@function
_ZL33flash_attn_stream_k_fixup_uniformILi256ELi1ELi1EEvPfPK15HIP_vector_typeIfLj2EEiiiiiiS1_IjLj3EES5_S5_: ; @_ZL33flash_attn_stream_k_fixup_uniformILi256ELi1ELi1EEvPfPK15HIP_vector_typeIfLj2EEiiiiiiS1_IjLj3EES5_S5_
; %bb.0:
	s_load_dwordx8 s[8:15], s[0:1], 0x1c
	s_load_dwordx2 s[6:7], s[0:1], 0x10
	s_load_dwordx4 s[16:19], s[0:1], 0x3c
	s_waitcnt lgkmcnt(0)
	s_mul_hi_u32 s5, s11, s2
	s_add_i32 s5, s2, s5
	s_lshr_b32 s5, s5, s12
	s_mul_i32 s11, s5, s13
	s_sub_i32 s12, s2, s11
	s_mul_hi_u32 s11, s12, s14
	s_add_i32 s11, s12, s11
	s_lshr_b32 s11, s11, s15
	s_mul_i32 s13, s11, s16
	s_sub_i32 s12, s12, s13
	;; [unrolled: 5-line block ×3, first 2 shown]
	s_add_i32 s17, s17, s3
	s_cmp_lt_i32 s17, s6
	s_cselect_b64 s[12:13], -1, 0
	s_add_i32 s16, s16, s4
	s_cmp_lt_i32 s16, s9
	s_cselect_b64 s[14:15], -1, 0
	s_and_b64 s[12:13], s[12:13], s[14:15]
	s_andn2_b64 vcc, exec, s[12:13]
	s_cbranch_vccnz .LBB24_6
; %bb.1:
	s_load_dwordx4 s[12:15], s[0:1], 0x0
	s_mul_i32 s5, s5, s6
	s_mul_i32 s11, s11, s9
	s_add_i32 s0, s17, s5
	s_mul_i32 s0, s0, s7
	s_add_i32 s1, s16, s11
	s_add_i32 s1, s1, s0
	v_lshl_or_b32 v4, s1, 8, v0
	s_waitcnt lgkmcnt(0)
	v_mov_b32_e32 v2, s12
	v_mov_b32_e32 v3, s13
	v_ashrrev_i32_e32 v5, 31, v4
	v_lshl_add_u64 v[2:3], v[4:5], 2, v[2:3]
	global_load_dword v5, v[2:3], off
	s_add_i32 s6, s3, s4
	s_mul_i32 s4, s10, s2
	s_add_i32 s5, s4, s10
	s_add_i32 s7, s6, s5
	s_add_i32 s0, s7, -1
	s_ashr_i32 s1, s0, 31
	s_lshl_b64 s[0:1], s[0:1], 3
	s_add_u32 s0, s14, s0
	s_addc_u32 s1, s15, s1
	s_load_dword s9, s[0:1], 0x4
	s_add_i32 s2, s5, -2
	s_cmp_lt_i32 s2, s4
	s_cbranch_scc1 .LBB24_4
; %bb.2:
	s_load_dword s0, s[0:1], 0x0
	s_lshl_b32 s2, s8, 2
	s_ashr_i32 s3, s2, 31
	s_lshl_b64 s[2:3], s[2:3], 2
	s_add_u32 s2, s14, s2
	v_lshl_or_b32 v0, s7, 8, v0
	s_addc_u32 s3, s15, s3
	s_add_i32 s5, s5, -1
	s_add_i32 s6, s6, s8
	v_add_u32_e32 v0, 0xfffffe00, v0
	s_waitcnt lgkmcnt(0)
	v_mov_b32_e32 v6, s0
	v_mov_b32_e32 v4, s9
	s_mov_b32 s7, 0x3fb8aa3b
	s_mov_b32 s8, 0xc2ce8ed0
	;; [unrolled: 1-line block ×3, first 2 shown]
	v_mov_b32_e32 v7, 0x7f800000
	s_mov_b32 s10, 0xc1a00000
.LBB24_3:                               ; =>This Inner Loop Header: Depth=1
	v_ashrrev_i32_e32 v1, 31, v0
	v_lshl_add_u64 v[8:9], v[0:1], 2, s[2:3]
	global_load_dword v9, v[8:9], off
	s_add_i32 s5, s5, -1
	s_add_i32 s0, s5, s6
	s_ashr_i32 s1, s0, 31
	s_lshl_b64 s[0:1], s[0:1], 3
	s_add_u32 s0, s14, s0
	s_addc_u32 s1, s15, s1
	s_load_dwordx2 s[0:1], s[0:1], 0x0
	v_max_f32_e32 v1, v6, v6
	v_add_u32_e32 v0, 0xffffff00, v0
	s_cmp_le_i32 s5, s4
	s_waitcnt lgkmcnt(0)
	v_max_f32_e64 v10, s0, s0
	v_max_f32_e32 v1, v1, v10
	v_sub_f32_e32 v11, s0, v1
	v_sub_f32_e32 v10, v6, v1
	v_mul_f32_e32 v12, 0x3fb8aa3b, v11
	v_mov_b32_e32 v6, v1
	v_mul_f32_e32 v1, 0x3fb8aa3b, v10
	v_fma_f32 v15, v11, s7, -v12
	v_rndne_f32_e32 v16, v12
	v_fma_f32 v13, v10, s7, -v1
	v_rndne_f32_e32 v14, v1
	v_fmac_f32_e32 v15, 0x32a5705f, v11
	v_sub_f32_e32 v12, v12, v16
	v_fmac_f32_e32 v13, 0x32a5705f, v10
	v_sub_f32_e32 v1, v1, v14
	v_add_f32_e32 v12, v12, v15
	v_cvt_i32_f32_e32 v16, v16
	v_add_f32_e32 v1, v1, v13
	v_exp_f32_e32 v12, v12
	v_cvt_i32_f32_e32 v14, v14
	v_exp_f32_e32 v1, v1
	v_cmp_ngt_f32_e32 vcc, s8, v11
	v_ldexp_f32 v12, v12, v16
	v_mov_b32_e32 v8, s1
	v_ldexp_f32 v1, v1, v14
	v_cmp_ngt_f32_e64 s[0:1], s8, v10
	v_cndmask_b32_e32 v12, 0, v12, vcc
	v_cmp_nlt_f32_e32 vcc, s9, v11
	v_cndmask_b32_e64 v1, 0, v1, s[0:1]
	v_cmp_nlt_f32_e64 s[0:1], s9, v10
	v_cndmask_b32_e32 v12, v7, v12, vcc
	v_cmp_le_f32_e32 vcc, s10, v11
	v_cndmask_b32_e64 v1, v7, v1, s[0:1]
	v_cmp_le_f32_e64 s[0:1], s10, v10
	v_cndmask_b32_e32 v12, 0, v12, vcc
	s_waitcnt vmcnt(0)
	v_pk_mul_f32 v[8:9], v[8:9], v[12:13] op_sel_hi:[1,0]
	v_cndmask_b32_e64 v10, 0, v1, s[0:1]
	v_pk_fma_f32 v[4:5], v[4:5], v[10:11], v[8:9] op_sel_hi:[1,0,1]
	s_cbranch_scc0 .LBB24_3
	s_branch .LBB24_5
.LBB24_4:
	s_waitcnt lgkmcnt(0)
	v_mov_b32_e32 v4, s9
.LBB24_5:
	s_waitcnt vmcnt(0)
	v_div_scale_f32 v0, s[0:1], v4, v4, v5
	v_rcp_f32_e32 v1, v0
	v_div_scale_f32 v6, vcc, v5, v4, v5
	v_fma_f32 v7, -v0, v1, 1.0
	v_fmac_f32_e32 v1, v7, v1
	v_mul_f32_e32 v7, v6, v1
	v_fma_f32 v8, -v0, v7, v6
	v_fmac_f32_e32 v7, v8, v1
	v_fma_f32 v0, -v0, v7, v6
	v_div_fmas_f32 v0, v0, v1, v7
	v_div_fixup_f32 v0, v0, v4, v5
	global_store_dword v[2:3], v0, off
.LBB24_6:
	s_endpgm
	.section	.rodata,"a",@progbits
	.p2align	6, 0x0
	.amdhsa_kernel _ZL33flash_attn_stream_k_fixup_uniformILi256ELi1ELi1EEvPfPK15HIP_vector_typeIfLj2EEiiiiiiS1_IjLj3EES5_S5_
		.amdhsa_group_segment_fixed_size 0
		.amdhsa_private_segment_fixed_size 0
		.amdhsa_kernarg_size 76
		.amdhsa_user_sgpr_count 2
		.amdhsa_user_sgpr_dispatch_ptr 0
		.amdhsa_user_sgpr_queue_ptr 0
		.amdhsa_user_sgpr_kernarg_segment_ptr 1
		.amdhsa_user_sgpr_dispatch_id 0
		.amdhsa_user_sgpr_kernarg_preload_length 0
		.amdhsa_user_sgpr_kernarg_preload_offset 0
		.amdhsa_user_sgpr_private_segment_size 0
		.amdhsa_uses_dynamic_stack 0
		.amdhsa_enable_private_segment 0
		.amdhsa_system_sgpr_workgroup_id_x 1
		.amdhsa_system_sgpr_workgroup_id_y 1
		.amdhsa_system_sgpr_workgroup_id_z 1
		.amdhsa_system_sgpr_workgroup_info 0
		.amdhsa_system_vgpr_workitem_id 0
		.amdhsa_next_free_vgpr 17
		.amdhsa_next_free_sgpr 20
		.amdhsa_accum_offset 20
		.amdhsa_reserve_vcc 1
		.amdhsa_float_round_mode_32 0
		.amdhsa_float_round_mode_16_64 0
		.amdhsa_float_denorm_mode_32 3
		.amdhsa_float_denorm_mode_16_64 3
		.amdhsa_dx10_clamp 1
		.amdhsa_ieee_mode 1
		.amdhsa_fp16_overflow 0
		.amdhsa_tg_split 0
		.amdhsa_exception_fp_ieee_invalid_op 0
		.amdhsa_exception_fp_denorm_src 0
		.amdhsa_exception_fp_ieee_div_zero 0
		.amdhsa_exception_fp_ieee_overflow 0
		.amdhsa_exception_fp_ieee_underflow 0
		.amdhsa_exception_fp_ieee_inexact 0
		.amdhsa_exception_int_div_zero 0
	.end_amdhsa_kernel
	.section	.text._ZL33flash_attn_stream_k_fixup_uniformILi256ELi1ELi1EEvPfPK15HIP_vector_typeIfLj2EEiiiiiiS1_IjLj3EES5_S5_,"axG",@progbits,_ZL33flash_attn_stream_k_fixup_uniformILi256ELi1ELi1EEvPfPK15HIP_vector_typeIfLj2EEiiiiiiS1_IjLj3EES5_S5_,comdat
.Lfunc_end24:
	.size	_ZL33flash_attn_stream_k_fixup_uniformILi256ELi1ELi1EEvPfPK15HIP_vector_typeIfLj2EEiiiiiiS1_IjLj3EES5_S5_, .Lfunc_end24-_ZL33flash_attn_stream_k_fixup_uniformILi256ELi1ELi1EEvPfPK15HIP_vector_typeIfLj2EEiiiiiiS1_IjLj3EES5_S5_
                                        ; -- End function
	.set _ZL33flash_attn_stream_k_fixup_uniformILi256ELi1ELi1EEvPfPK15HIP_vector_typeIfLj2EEiiiiiiS1_IjLj3EES5_S5_.num_vgpr, 17
	.set _ZL33flash_attn_stream_k_fixup_uniformILi256ELi1ELi1EEvPfPK15HIP_vector_typeIfLj2EEiiiiiiS1_IjLj3EES5_S5_.num_agpr, 0
	.set _ZL33flash_attn_stream_k_fixup_uniformILi256ELi1ELi1EEvPfPK15HIP_vector_typeIfLj2EEiiiiiiS1_IjLj3EES5_S5_.numbered_sgpr, 20
	.set _ZL33flash_attn_stream_k_fixup_uniformILi256ELi1ELi1EEvPfPK15HIP_vector_typeIfLj2EEiiiiiiS1_IjLj3EES5_S5_.num_named_barrier, 0
	.set _ZL33flash_attn_stream_k_fixup_uniformILi256ELi1ELi1EEvPfPK15HIP_vector_typeIfLj2EEiiiiiiS1_IjLj3EES5_S5_.private_seg_size, 0
	.set _ZL33flash_attn_stream_k_fixup_uniformILi256ELi1ELi1EEvPfPK15HIP_vector_typeIfLj2EEiiiiiiS1_IjLj3EES5_S5_.uses_vcc, 1
	.set _ZL33flash_attn_stream_k_fixup_uniformILi256ELi1ELi1EEvPfPK15HIP_vector_typeIfLj2EEiiiiiiS1_IjLj3EES5_S5_.uses_flat_scratch, 0
	.set _ZL33flash_attn_stream_k_fixup_uniformILi256ELi1ELi1EEvPfPK15HIP_vector_typeIfLj2EEiiiiiiS1_IjLj3EES5_S5_.has_dyn_sized_stack, 0
	.set _ZL33flash_attn_stream_k_fixup_uniformILi256ELi1ELi1EEvPfPK15HIP_vector_typeIfLj2EEiiiiiiS1_IjLj3EES5_S5_.has_recursion, 0
	.set _ZL33flash_attn_stream_k_fixup_uniformILi256ELi1ELi1EEvPfPK15HIP_vector_typeIfLj2EEiiiiiiS1_IjLj3EES5_S5_.has_indirect_call, 0
	.section	.AMDGPU.csdata,"",@progbits
; Kernel info:
; codeLenInByte = 756
; TotalNumSgprs: 26
; NumVgprs: 17
; NumAgprs: 0
; TotalNumVgprs: 17
; ScratchSize: 0
; MemoryBound: 0
; FloatMode: 240
; IeeeMode: 1
; LDSByteSize: 0 bytes/workgroup (compile time only)
; SGPRBlocks: 3
; VGPRBlocks: 2
; NumSGPRsForWavesPerEU: 26
; NumVGPRsForWavesPerEU: 17
; AccumOffset: 20
; Occupancy: 8
; WaveLimiterHint : 0
; COMPUTE_PGM_RSRC2:SCRATCH_EN: 0
; COMPUTE_PGM_RSRC2:USER_SGPR: 2
; COMPUTE_PGM_RSRC2:TRAP_HANDLER: 0
; COMPUTE_PGM_RSRC2:TGID_X_EN: 1
; COMPUTE_PGM_RSRC2:TGID_Y_EN: 1
; COMPUTE_PGM_RSRC2:TGID_Z_EN: 1
; COMPUTE_PGM_RSRC2:TIDIG_COMP_CNT: 0
; COMPUTE_PGM_RSRC3_GFX90A:ACCUM_OFFSET: 4
; COMPUTE_PGM_RSRC3_GFX90A:TG_SPLIT: 0
	.section	.text._ZL33flash_attn_stream_k_fixup_generalILi256ELi1ELi1EEvPfPK15HIP_vector_typeIfLj2EEiiiiS1_IjLj3EES5_S5_S5_,"axG",@progbits,_ZL33flash_attn_stream_k_fixup_generalILi256ELi1ELi1EEvPfPK15HIP_vector_typeIfLj2EEiiiiS1_IjLj3EES5_S5_S5_,comdat
	.globl	_ZL33flash_attn_stream_k_fixup_generalILi256ELi1ELi1EEvPfPK15HIP_vector_typeIfLj2EEiiiiS1_IjLj3EES5_S5_S5_ ; -- Begin function _ZL33flash_attn_stream_k_fixup_generalILi256ELi1ELi1EEvPfPK15HIP_vector_typeIfLj2EEiiiiS1_IjLj3EES5_S5_S5_
	.p2align	8
	.type	_ZL33flash_attn_stream_k_fixup_generalILi256ELi1ELi1EEvPfPK15HIP_vector_typeIfLj2EEiiiiS1_IjLj3EES5_S5_S5_,@function
_ZL33flash_attn_stream_k_fixup_generalILi256ELi1ELi1EEvPfPK15HIP_vector_typeIfLj2EEiiiiS1_IjLj3EES5_S5_S5_: ; @_ZL33flash_attn_stream_k_fixup_generalILi256ELi1ELi1EEvPfPK15HIP_vector_typeIfLj2EEiiiiS1_IjLj3EES5_S5_S5_
; %bb.0:
	s_load_dwordx4 s[8:11], s[0:1], 0x10
	s_load_dword s22, s[0:1], 0x50
	s_mov_b32 s12, 0
	s_waitcnt lgkmcnt(0)
	s_mul_hi_i32 s13, s11, s2
	s_cmp_lg_u64 s[12:13], 0
	s_mul_i32 s5, s11, s2
	s_cbranch_scc0 .LBB25_20
; %bb.1:
	s_add_u32 s6, s22, 0
	s_addc_u32 s7, 0, 0
	s_xor_b64 s[6:7], s[6:7], 0
	v_cvt_f32_u32_e32 v1, s6
	v_cvt_f32_u32_e32 v2, s7
	s_sub_u32 s12, 0, s6
	s_subb_u32 s18, 0, s7
	v_fmamk_f32 v1, v2, 0x4f800000, v1
	v_rcp_f32_e32 v1, v1
	s_nop 0
	v_mul_f32_e32 v1, 0x5f7ffffc, v1
	v_mul_f32_e32 v2, 0x2f800000, v1
	v_trunc_f32_e32 v2, v2
	v_fmamk_f32 v1, v2, 0xcf800000, v1
	v_cvt_u32_f32_e32 v2, v2
	v_cvt_u32_f32_e32 v1, v1
	v_readfirstlane_b32 s19, v2
	v_readfirstlane_b32 s14, v1
	s_mul_i32 s15, s12, s19
	s_mul_hi_u32 s21, s12, s14
	s_mul_i32 s20, s18, s14
	s_add_i32 s15, s21, s15
	s_add_i32 s15, s15, s20
	s_mul_i32 s23, s12, s14
	s_mul_i32 s21, s14, s15
	s_mul_hi_u32 s24, s14, s23
	s_mul_hi_u32 s20, s14, s15
	s_add_u32 s21, s24, s21
	s_addc_u32 s20, 0, s20
	s_mul_hi_u32 s25, s19, s23
	s_mul_i32 s23, s19, s23
	s_add_u32 s21, s21, s23
	s_mul_hi_u32 s24, s19, s15
	s_addc_u32 s20, s20, s25
	s_addc_u32 s21, s24, 0
	s_mul_i32 s15, s19, s15
	s_add_u32 s15, s20, s15
	s_addc_u32 s20, 0, s21
	s_add_u32 s21, s14, s15
	s_cselect_b64 s[14:15], -1, 0
	s_cmp_lg_u64 s[14:15], 0
	s_addc_u32 s19, s19, s20
	s_mul_i32 s14, s12, s19
	s_mul_hi_u32 s15, s12, s21
	s_add_i32 s14, s15, s14
	s_mul_i32 s18, s18, s21
	s_add_i32 s14, s14, s18
	s_mul_i32 s12, s12, s21
	s_mul_hi_u32 s18, s19, s12
	s_mul_i32 s20, s19, s12
	s_mul_i32 s24, s21, s14
	s_mul_hi_u32 s12, s21, s12
	s_mul_hi_u32 s23, s21, s14
	s_add_u32 s12, s12, s24
	s_addc_u32 s23, 0, s23
	s_add_u32 s12, s12, s20
	s_mul_hi_u32 s15, s19, s14
	s_addc_u32 s12, s23, s18
	s_addc_u32 s15, s15, 0
	s_mul_i32 s14, s19, s14
	s_add_u32 s12, s12, s14
	s_addc_u32 s18, 0, s15
	s_add_u32 s20, s21, s12
	s_cselect_b64 s[14:15], -1, 0
	s_cmp_lg_u64 s[14:15], 0
	s_addc_u32 s18, s19, s18
	s_ashr_i32 s14, s13, 31
	s_add_u32 s12, s5, s14
	s_mov_b32 s15, s14
	s_addc_u32 s13, s13, s14
	s_xor_b64 s[12:13], s[12:13], s[14:15]
	s_mul_i32 s21, s12, s18
	s_mul_hi_u32 s23, s12, s20
	s_mul_hi_u32 s19, s12, s18
	s_add_u32 s21, s23, s21
	s_addc_u32 s19, 0, s19
	s_mul_hi_u32 s24, s13, s20
	s_mul_i32 s20, s13, s20
	s_add_u32 s20, s21, s20
	s_mul_hi_u32 s23, s13, s18
	s_addc_u32 s19, s19, s24
	s_addc_u32 s20, s23, 0
	s_mul_i32 s18, s13, s18
	s_add_u32 s23, s19, s18
	s_addc_u32 s24, 0, s20
	s_mul_i32 s18, s6, s24
	s_mul_hi_u32 s19, s6, s23
	s_add_i32 s18, s19, s18
	s_mul_i32 s19, s7, s23
	s_add_i32 s25, s18, s19
	s_sub_i32 s20, s13, s25
	s_mul_i32 s18, s6, s23
	s_sub_u32 s12, s12, s18
	s_cselect_b64 s[18:19], -1, 0
	s_cmp_lg_u64 s[18:19], 0
	s_subb_u32 s26, s20, s7
	s_sub_u32 s27, s12, s6
	s_cselect_b64 s[20:21], -1, 0
	s_cmp_lg_u64 s[20:21], 0
	s_subb_u32 s20, s26, 0
	s_cmp_ge_u32 s20, s7
	s_cselect_b32 s21, -1, 0
	s_cmp_ge_u32 s27, s6
	s_cselect_b32 s26, -1, 0
	s_cmp_eq_u32 s20, s7
	s_cselect_b32 s20, s26, s21
	s_add_u32 s21, s23, 1
	s_addc_u32 s26, s24, 0
	s_add_u32 s27, s23, 2
	s_addc_u32 s28, s24, 0
	s_cmp_lg_u32 s20, 0
	s_cselect_b32 s20, s27, s21
	s_cselect_b32 s21, s28, s26
	s_cmp_lg_u64 s[18:19], 0
	s_subb_u32 s13, s13, s25
	s_cmp_ge_u32 s13, s7
	s_cselect_b32 s18, -1, 0
	s_cmp_ge_u32 s12, s6
	s_cselect_b32 s6, -1, 0
	s_cmp_eq_u32 s13, s7
	s_cselect_b32 s6, s6, s18
	s_cmp_lg_u32 s6, 0
	s_cselect_b32 s7, s21, s24
	s_cselect_b32 s6, s20, s23
	s_xor_b64 s[12:13], s[14:15], 0
	s_xor_b64 s[6:7], s[6:7], s[12:13]
	s_sub_u32 s6, s6, s12
	s_load_dwordx4 s[12:15], s[0:1], 0x44
	s_cbranch_execnz .LBB25_3
.LBB25_2:
	v_cvt_f32_u32_e32 v1, s22
	s_sub_i32 s6, 0, s22
	v_rcp_iflag_f32_e32 v1, v1
	s_nop 0
	v_mul_f32_e32 v1, 0x4f7ffffe, v1
	v_cvt_u32_f32_e32 v1, v1
	s_nop 0
	v_readfirstlane_b32 s7, v1
	s_mul_i32 s6, s6, s7
	s_mul_hi_u32 s6, s7, s6
	s_add_i32 s7, s7, s6
	s_mul_hi_u32 s6, s5, s7
	s_waitcnt lgkmcnt(0)
	s_mul_i32 s15, s6, s22
	s_sub_i32 s5, s5, s15
	s_add_i32 s7, s6, 1
	s_sub_i32 s15, s5, s22
	s_cmp_ge_u32 s5, s22
	s_cselect_b32 s6, s7, s6
	s_cselect_b32 s5, s15, s5
	s_add_i32 s7, s6, 1
	s_cmp_ge_u32 s5, s22
	s_cselect_b32 s6, s7, s6
.LBB25_3:
	s_add_i32 s5, s2, 1
	s_mul_hi_i32 s21, s11, s5
	s_mov_b32 s20, 0
	s_cmp_lg_u64 s[20:21], 0
	s_mul_i32 s5, s11, s5
	s_cbranch_scc0 .LBB25_21
; %bb.4:
	s_add_u32 s16, s22, 0
	s_addc_u32 s17, 0, 0
	s_xor_b64 s[18:19], s[16:17], 0
	v_cvt_f32_u32_e32 v1, s18
	v_cvt_f32_u32_e32 v2, s19
	s_sub_u32 s7, 0, s18
	s_waitcnt lgkmcnt(0)
	s_subb_u32 s15, 0, s19
	v_fmamk_f32 v1, v2, 0x4f800000, v1
	v_rcp_f32_e32 v1, v1
	s_nop 0
	v_mul_f32_e32 v1, 0x5f7ffffc, v1
	v_mul_f32_e32 v2, 0x2f800000, v1
	v_trunc_f32_e32 v2, v2
	v_fmamk_f32 v1, v2, 0xcf800000, v1
	v_cvt_u32_f32_e32 v2, v2
	v_cvt_u32_f32_e32 v1, v1
	v_readfirstlane_b32 s20, v2
	v_readfirstlane_b32 s23, v1
	s_mul_i32 s24, s7, s20
	s_mul_hi_u32 s26, s7, s23
	s_mul_i32 s25, s15, s23
	s_add_i32 s24, s26, s24
	s_add_i32 s24, s24, s25
	s_mul_i32 s27, s7, s23
	s_mul_i32 s26, s23, s24
	s_mul_hi_u32 s28, s23, s27
	s_mul_hi_u32 s25, s23, s24
	s_add_u32 s26, s28, s26
	s_addc_u32 s25, 0, s25
	s_mul_hi_u32 s29, s20, s27
	s_mul_i32 s27, s20, s27
	s_add_u32 s26, s26, s27
	s_mul_hi_u32 s28, s20, s24
	s_addc_u32 s25, s25, s29
	s_addc_u32 s26, s28, 0
	s_mul_i32 s24, s20, s24
	s_add_u32 s24, s25, s24
	s_addc_u32 s26, 0, s26
	s_add_u32 s23, s23, s24
	s_cselect_b64 s[24:25], -1, 0
	s_cmp_lg_u64 s[24:25], 0
	s_addc_u32 s20, s20, s26
	s_mul_i32 s24, s7, s20
	s_mul_hi_u32 s25, s7, s23
	s_add_i32 s24, s25, s24
	s_mul_i32 s15, s15, s23
	s_add_i32 s24, s24, s15
	s_mul_i32 s7, s7, s23
	s_mul_hi_u32 s25, s20, s7
	s_mul_i32 s26, s20, s7
	s_mul_i32 s28, s23, s24
	s_mul_hi_u32 s7, s23, s7
	s_mul_hi_u32 s27, s23, s24
	s_add_u32 s7, s7, s28
	s_addc_u32 s27, 0, s27
	s_add_u32 s7, s7, s26
	s_mul_hi_u32 s15, s20, s24
	s_addc_u32 s7, s27, s25
	s_addc_u32 s15, s15, 0
	s_mul_i32 s24, s20, s24
	s_add_u32 s7, s7, s24
	s_addc_u32 s15, 0, s15
	s_add_u32 s7, s23, s7
	s_cselect_b64 s[24:25], -1, 0
	s_cmp_lg_u64 s[24:25], 0
	s_addc_u32 s15, s20, s15
	s_ashr_i32 s24, s21, 31
	s_add_u32 s20, s5, s24
	s_mov_b32 s25, s24
	s_addc_u32 s21, s21, s24
	s_xor_b64 s[20:21], s[20:21], s[24:25]
	s_mul_i32 s26, s20, s15
	s_mul_hi_u32 s27, s20, s7
	s_mul_hi_u32 s23, s20, s15
	s_add_u32 s26, s27, s26
	s_addc_u32 s23, 0, s23
	s_mul_hi_u32 s28, s21, s7
	s_mul_i32 s7, s21, s7
	s_add_u32 s7, s26, s7
	s_mul_hi_u32 s27, s21, s15
	s_addc_u32 s7, s23, s28
	s_addc_u32 s23, s27, 0
	s_mul_i32 s15, s21, s15
	s_add_u32 s7, s7, s15
	s_addc_u32 s15, 0, s23
	s_mul_i32 s23, s18, s15
	s_mul_hi_u32 s26, s18, s7
	s_add_i32 s23, s26, s23
	s_mul_i32 s26, s19, s7
	s_add_i32 s23, s23, s26
	s_sub_i32 s28, s21, s23
	s_mul_i32 s26, s18, s7
	s_sub_u32 s20, s20, s26
	s_cselect_b64 s[26:27], -1, 0
	s_cmp_lg_u64 s[26:27], 0
	s_subb_u32 s30, s28, s19
	s_sub_u32 s31, s20, s18
	s_cselect_b64 s[28:29], -1, 0
	s_cmp_lg_u64 s[28:29], 0
	s_subb_u32 s28, s30, 0
	s_cmp_ge_u32 s28, s19
	s_cselect_b32 s29, -1, 0
	s_cmp_ge_u32 s31, s18
	s_cselect_b32 s30, -1, 0
	s_cmp_eq_u32 s28, s19
	s_cselect_b32 s28, s30, s29
	s_add_u32 s29, s7, 1
	s_addc_u32 s30, s15, 0
	s_add_u32 s31, s7, 2
	s_addc_u32 s33, s15, 0
	s_cmp_lg_u32 s28, 0
	s_cselect_b32 s28, s31, s29
	s_cselect_b32 s29, s33, s30
	s_cmp_lg_u64 s[26:27], 0
	s_subb_u32 s21, s21, s23
	s_cmp_ge_u32 s21, s19
	s_cselect_b32 s23, -1, 0
	s_cmp_ge_u32 s20, s18
	s_cselect_b32 s18, -1, 0
	s_cmp_eq_u32 s21, s19
	s_cselect_b32 s18, s18, s23
	s_cmp_lg_u32 s18, 0
	s_cselect_b32 s19, s29, s15
	s_cselect_b32 s18, s28, s7
	s_xor_b64 s[20:21], s[24:25], 0
	s_xor_b64 s[18:19], s[18:19], s[20:21]
	s_sub_u32 s18, s18, s20
	s_cbranch_execnz .LBB25_6
.LBB25_5:
	v_cvt_f32_u32_e32 v1, s22
	s_sub_i32 s7, 0, s22
	v_rcp_iflag_f32_e32 v1, v1
	s_nop 0
	v_mul_f32_e32 v1, 0x4f7ffffe, v1
	v_cvt_u32_f32_e32 v1, v1
	s_waitcnt lgkmcnt(0)
	v_readfirstlane_b32 s15, v1
	s_mul_i32 s7, s7, s15
	s_mul_hi_u32 s7, s15, s7
	s_add_i32 s15, s15, s7
	s_mul_hi_u32 s7, s5, s15
	s_mul_i32 s16, s7, s22
	s_sub_i32 s5, s5, s16
	s_add_i32 s15, s7, 1
	s_sub_i32 s16, s5, s22
	s_cmp_ge_u32 s5, s22
	s_cselect_b32 s7, s15, s7
	s_cselect_b32 s5, s16, s5
	s_add_i32 s15, s7, 1
	s_cmp_ge_u32 s5, s22
	s_cselect_b32 s18, s15, s7
.LBB25_6:
	s_cmp_eq_u32 s6, s18
	s_waitcnt lgkmcnt(0)
	s_mul_hi_u32 s5, s6, s12
	s_cselect_b64 s[16:17], -1, 0
	s_add_i32 s5, s5, s6
	s_lshr_b32 s7, s5, s13
	s_mul_i32 s5, s7, s14
	s_cmp_eq_u32 s5, s6
	s_mul_hi_u32 s5, s18, s12
	s_cselect_b64 s[20:21], -1, 0
	s_add_i32 s5, s5, s18
	s_lshr_b32 s5, s5, s13
	s_cmp_eq_u32 s7, s5
	s_mul_i32 s5, s5, s14
	s_cselect_b64 s[24:25], -1, 0
	s_cmp_lg_u32 s5, s18
	s_cselect_b64 s[18:19], -1, 0
	s_and_b64 s[18:19], s[24:25], s[18:19]
	s_or_b64 s[16:17], s[16:17], s[20:21]
	s_or_b64 s[16:17], s[16:17], s[18:19]
	s_and_b64 vcc, exec, s[16:17]
	s_cbranch_vccnz .LBB25_23
; %bb.7:
	s_load_dwordx8 s[24:31], s[0:1], 0x20
	s_load_dword s5, s[0:1], 0x40
	s_waitcnt lgkmcnt(0)
	s_mul_hi_u32 s15, s6, s24
	s_add_i32 s15, s15, s6
	s_lshr_b32 s20, s15, s25
	s_mul_i32 s15, s20, s26
	s_sub_i32 s15, s6, s15
	s_mul_hi_u32 s16, s15, s27
	s_add_i32 s16, s15, s16
	s_lshr_b32 s21, s16, s28
	s_mul_i32 s16, s21, s29
	s_sub_i32 s15, s15, s16
	;; [unrolled: 5-line block ×3, first 2 shown]
	s_mul_hi_u32 s15, s5, s12
	s_add_i32 s5, s5, s15
	s_lshr_b32 s23, s5, s13
	s_add_i32 s23, s23, s3
	s_cmp_lt_i32 s23, s8
	s_cselect_b64 s[16:17], -1, 0
	s_add_i32 s24, s24, s4
	s_cmp_lt_i32 s24, s10
	s_cselect_b64 s[18:19], -1, 0
	s_and_b64 s[16:17], s[16:17], s[18:19]
	s_andn2_b64 vcc, exec, s[16:17]
	s_cbranch_vccnz .LBB25_23
; %bb.8:
	s_load_dwordx4 s[16:19], s[0:1], 0x0
	s_mov_b32 s0, 0
	s_add_i32 s15, s3, s4
	s_lshl_b32 s4, s22, 2
	s_mov_b32 s5, s0
	s_lshl_b64 s[4:5], s[4:5], 2
	s_waitcnt lgkmcnt(0)
	s_add_u32 s4, s18, s4
	s_mul_i32 s20, s20, s8
	s_addc_u32 s5, s19, s5
	s_mul_i32 s21, s21, s10
	s_add_i32 s1, s23, s20
	s_mul_i32 s1, s1, s9
	s_add_i32 s3, s24, s21
	s_add_i32 s3, s3, s1
	v_lshl_or_b32 v4, s3, 8, v0
	v_mov_b32_e32 v2, s16
	v_mov_b32_e32 v3, s17
	v_ashrrev_i32_e32 v5, 31, v4
	v_lshl_add_u64 v[2:3], v[4:5], 2, v[2:3]
	global_load_dword v5, v[2:3], off
	v_cvt_f32_u32_e32 v1, s22
	s_add_i32 s8, s15, s2
	s_ashr_i32 s9, s8, 31
	s_lshl_b64 s[8:9], s[8:9], 3
	v_rcp_iflag_f32_e32 v1, v1
	s_add_u32 s8, s18, s8
	s_addc_u32 s9, s19, s9
	s_load_dwordx2 s[8:9], s[8:9], 0x0
	v_mul_f32_e32 v1, 0x4f7ffffe, v1
	v_cvt_u32_f32_e32 v1, v1
	s_add_i32 s24, s2, -1
	s_mov_b32 s10, 0x3fb8aa3b
	s_waitcnt lgkmcnt(0)
	v_mov_b32_e32 v4, s9
	v_mov_b32_e32 v9, s8
	s_mov_b32 s20, 0xc2ce8ed0
	s_mov_b32 s21, 0x42b17218
	;; [unrolled: 1-line block ×3, first 2 shown]
	v_mov_b32_e32 v8, 0x7f800000
	s_mul_hi_i32 s1, s24, s11
	s_cmp_lg_u64 s[0:1], 0
	s_mul_i32 s16, s24, s11
	s_cbranch_scc0 .LBB25_19
.LBB25_9:
	s_add_u32 s2, s22, 0
	s_addc_u32 s3, 0, 0
	s_xor_b64 s[2:3], s[2:3], 0
	v_cvt_f32_u32_e32 v6, s2
	v_cvt_f32_u32_e32 v7, s3
	s_sub_u32 s17, 0, s2
	s_subb_u32 s25, 0, s3
	v_fmac_f32_e32 v6, 0x4f800000, v7
	v_rcp_f32_e32 v6, v6
	s_nop 0
	v_mul_f32_e32 v6, 0x5f7ffffc, v6
	v_mul_f32_e32 v7, 0x2f800000, v6
	v_trunc_f32_e32 v7, v7
	v_fmac_f32_e32 v6, 0xcf800000, v7
	v_cvt_u32_f32_e32 v7, v7
	v_cvt_u32_f32_e32 v6, v6
	v_readfirstlane_b32 s26, v7
	v_readfirstlane_b32 s8, v6
	s_mul_i32 s9, s17, s26
	s_mul_hi_u32 s28, s17, s8
	s_mul_i32 s27, s25, s8
	s_add_i32 s9, s28, s9
	s_mul_i32 s29, s17, s8
	s_add_i32 s9, s9, s27
	s_mul_i32 s28, s8, s9
	s_mul_hi_u32 s30, s8, s29
	s_mul_hi_u32 s27, s8, s9
	s_add_u32 s28, s30, s28
	s_addc_u32 s27, 0, s27
	s_mul_hi_u32 s31, s26, s29
	s_mul_i32 s29, s26, s29
	s_add_u32 s28, s28, s29
	s_mul_hi_u32 s30, s26, s9
	s_addc_u32 s27, s27, s31
	s_addc_u32 s28, s30, 0
	s_mul_i32 s9, s26, s9
	s_add_u32 s9, s27, s9
	s_addc_u32 s27, 0, s28
	s_add_u32 s28, s8, s9
	s_cselect_b64 s[8:9], -1, 0
	s_cmp_lg_u64 s[8:9], 0
	s_addc_u32 s26, s26, s27
	s_mul_i32 s8, s17, s26
	s_mul_hi_u32 s9, s17, s28
	s_add_i32 s8, s9, s8
	s_mul_i32 s25, s25, s28
	s_add_i32 s8, s8, s25
	s_mul_i32 s17, s17, s28
	s_mul_hi_u32 s25, s26, s17
	s_mul_i32 s27, s26, s17
	s_mul_i32 s30, s28, s8
	s_mul_hi_u32 s17, s28, s17
	s_mul_hi_u32 s29, s28, s8
	s_add_u32 s17, s17, s30
	s_addc_u32 s29, 0, s29
	s_add_u32 s17, s17, s27
	s_mul_hi_u32 s9, s26, s8
	s_addc_u32 s17, s29, s25
	s_addc_u32 s9, s9, 0
	s_mul_i32 s8, s26, s8
	s_add_u32 s8, s17, s8
	s_addc_u32 s17, 0, s9
	s_add_u32 s25, s28, s8
	s_cselect_b64 s[8:9], -1, 0
	s_cmp_lg_u64 s[8:9], 0
	s_addc_u32 s17, s26, s17
	s_ashr_i32 s8, s1, 31
	s_add_u32 s26, s16, s8
	s_mov_b32 s9, s8
	s_addc_u32 s27, s1, s8
	s_xor_b64 s[26:27], s[26:27], s[8:9]
	s_mul_i32 s28, s26, s17
	s_mul_hi_u32 s29, s26, s25
	s_mul_hi_u32 s1, s26, s17
	s_add_u32 s28, s29, s28
	s_addc_u32 s1, 0, s1
	s_mul_hi_u32 s30, s27, s25
	s_mul_i32 s25, s27, s25
	s_add_u32 s25, s28, s25
	s_mul_hi_u32 s29, s27, s17
	s_addc_u32 s1, s1, s30
	s_addc_u32 s25, s29, 0
	s_mul_i32 s17, s27, s17
	s_add_u32 s1, s1, s17
	s_addc_u32 s17, 0, s25
	s_mul_i32 s25, s2, s17
	s_mul_hi_u32 s28, s2, s1
	s_add_i32 s25, s28, s25
	s_mul_i32 s28, s3, s1
	s_add_i32 s25, s25, s28
	s_sub_i32 s30, s27, s25
	s_mul_i32 s28, s2, s1
	s_sub_u32 s26, s26, s28
	s_cselect_b64 s[28:29], -1, 0
	s_cmp_lg_u64 s[28:29], 0
	s_subb_u32 s33, s30, s3
	s_sub_u32 s34, s26, s2
	s_cselect_b64 s[30:31], -1, 0
	s_cmp_lg_u64 s[30:31], 0
	s_subb_u32 s30, s33, 0
	s_cmp_ge_u32 s30, s3
	s_cselect_b32 s31, -1, 0
	s_cmp_ge_u32 s34, s2
	s_cselect_b32 s33, -1, 0
	s_cmp_eq_u32 s30, s3
	s_cselect_b32 s30, s33, s31
	s_add_u32 s31, s1, 1
	s_addc_u32 s33, s17, 0
	s_add_u32 s34, s1, 2
	s_addc_u32 s35, s17, 0
	s_cmp_lg_u32 s30, 0
	s_cselect_b32 s30, s34, s31
	s_cselect_b32 s31, s35, s33
	s_cmp_lg_u64 s[28:29], 0
	s_subb_u32 s25, s27, s25
	s_cmp_ge_u32 s25, s3
	s_cselect_b32 s27, -1, 0
	s_cmp_ge_u32 s26, s2
	s_cselect_b32 s2, -1, 0
	s_cmp_eq_u32 s25, s3
	s_cselect_b32 s2, s2, s27
	s_cmp_lg_u32 s2, 0
	s_cselect_b32 s3, s31, s17
	s_cselect_b32 s2, s30, s1
	s_xor_b64 s[8:9], s[8:9], 0
	s_xor_b64 s[2:3], s[2:3], s[8:9]
	s_sub_u32 s8, s2, s8
	s_cbranch_execnz .LBB25_11
.LBB25_10:
	s_sub_i32 s1, 0, s22
	v_readfirstlane_b32 s2, v1
	s_mul_i32 s1, s1, s2
	s_mul_hi_u32 s1, s2, s1
	s_add_i32 s2, s2, s1
	s_mul_hi_u32 s1, s16, s2
	s_mul_i32 s3, s1, s22
	s_sub_i32 s3, s16, s3
	s_add_i32 s2, s1, 1
	s_sub_i32 s8, s3, s22
	s_cmp_ge_u32 s3, s22
	s_cselect_b32 s1, s2, s1
	s_cselect_b32 s3, s8, s3
	s_add_i32 s2, s1, 1
	s_cmp_ge_u32 s3, s22
	s_cselect_b32 s8, s2, s1
.LBB25_11:
	s_cmp_lg_u32 s6, s8
	s_cbranch_scc0 .LBB25_15
; %bb.12:
	s_add_i32 s9, s24, s15
	s_add_i32 s2, s9, s22
	s_mov_b32 s3, s0
	s_lshl_b64 s[2:3], s[2:3], 3
	s_add_u32 s16, s18, s2
	s_mul_hi_u32 s1, s8, s12
	s_addc_u32 s17, s19, s3
	s_add_i32 s1, s1, s8
	s_lshr_b32 s1, s1, s13
	s_mul_i32 s2, s1, s14
	s_cmp_eq_u32 s2, s8
	s_cselect_b64 s[2:3], -1, 0
	s_cmp_lt_u32 s1, s7
	s_cselect_b64 s[26:27], -1, 0
	s_or_b64 s[26:27], s[26:27], s[2:3]
	s_mov_b64 s[2:3], -1
	s_and_b64 vcc, exec, s[26:27]
	s_mov_b32 s1, s24
	s_mov_b32 s25, s6
	s_cbranch_vccnz .LBB25_14
; %bb.13:
	s_add_i32 s1, s24, -1
	s_mov_b64 s[2:3], 0
	s_mov_b32 s25, s8
.LBB25_14:
	v_lshl_or_b32 v6, s9, 8, v0
	v_ashrrev_i32_e32 v7, 31, v6
	v_lshl_add_u64 v[6:7], v[6:7], 2, s[4:5]
	global_load_dword v7, v[6:7], off
	s_load_dwordx2 s[8:9], s[16:17], 0x0
	v_max_f32_e32 v6, v9, v9
	s_waitcnt lgkmcnt(0)
	v_max_f32_e64 v10, s8, s8
	v_max_f32_e32 v10, v6, v10
	v_sub_f32_e32 v11, v9, v10
	v_sub_f32_e32 v13, s8, v10
	v_mul_f32_e32 v6, 0x3fb8aa3b, v11
	v_mul_f32_e32 v12, 0x3fb8aa3b, v13
	v_fma_f32 v14, v11, s10, -v6
	v_rndne_f32_e32 v15, v6
	v_fma_f32 v16, v13, s10, -v12
	v_rndne_f32_e32 v17, v12
	v_fmac_f32_e32 v14, 0x32a5705f, v11
	v_sub_f32_e32 v6, v6, v15
	v_fmac_f32_e32 v16, 0x32a5705f, v13
	v_sub_f32_e32 v12, v12, v17
	v_add_f32_e32 v6, v6, v14
	v_cvt_i32_f32_e32 v15, v15
	v_add_f32_e32 v12, v12, v16
	v_exp_f32_e32 v14, v6
	v_cvt_i32_f32_e32 v17, v17
	v_exp_f32_e32 v12, v12
	v_cmp_ngt_f32_e32 vcc, s20, v11
	v_ldexp_f32 v14, v14, v15
	v_mov_b32_e32 v6, s9
	v_ldexp_f32 v12, v12, v17
	v_cndmask_b32_e32 v14, 0, v14, vcc
	v_cmp_ngt_f32_e32 vcc, s20, v13
	s_nop 1
	v_cndmask_b32_e32 v12, 0, v12, vcc
	v_cmp_nlt_f32_e32 vcc, s21, v11
	s_nop 1
	v_cndmask_b32_e32 v14, v8, v14, vcc
	v_cmp_nlt_f32_e32 vcc, s21, v13
	s_nop 1
	v_cndmask_b32_e32 v15, v8, v12, vcc
	v_cmp_le_f32_e32 vcc, s23, v11
	s_nop 1
	v_cndmask_b32_e32 v12, 0, v14, vcc
	v_cmp_le_f32_e32 vcc, s23, v13
	s_nop 1
	v_cndmask_b32_e32 v14, 0, v15, vcc
	s_waitcnt vmcnt(0)
	v_pk_mul_f32 v[6:7], v[6:7], v[14:15] op_sel_hi:[1,0]
	s_nop 0
	v_pk_fma_f32 v[6:7], v[4:5], v[12:13], v[6:7] op_sel_hi:[1,0,1]
	s_cbranch_execz .LBB25_16
	s_branch .LBB25_17
.LBB25_15:
                                        ; implicit-def: $vgpr6_vgpr7
                                        ; implicit-def: $sgpr2_sgpr3
                                        ; implicit-def: $vgpr10
                                        ; implicit-def: $sgpr1
                                        ; implicit-def: $sgpr25
.LBB25_16:
	s_add_i32 s1, s24, -1
	s_mov_b64 s[2:3], 0
	s_mov_b32 s25, s6
	v_mov_b32_e32 v10, v9
	s_waitcnt vmcnt(0)
	v_mov_b64_e32 v[6:7], v[4:5]
.LBB25_17:
	s_andn2_b64 vcc, exec, s[2:3]
	s_cbranch_vccz .LBB25_22
; %bb.18:
	s_mov_b32 s6, s25
	s_mov_b32 s24, s1
	v_mov_b32_e32 v9, v10
	s_waitcnt vmcnt(0)
	v_mov_b64_e32 v[4:5], v[6:7]
	s_mul_hi_i32 s1, s24, s11
	s_cmp_lg_u64 s[0:1], 0
	s_mul_i32 s16, s24, s11
	s_cbranch_scc1 .LBB25_9
.LBB25_19:
                                        ; implicit-def: $sgpr8_sgpr9
	s_branch .LBB25_10
.LBB25_20:
                                        ; implicit-def: $sgpr6_sgpr7
	s_load_dwordx4 s[12:15], s[0:1], 0x44
	s_branch .LBB25_2
.LBB25_21:
                                        ; implicit-def: $sgpr18_sgpr19
	s_branch .LBB25_5
.LBB25_22:
	v_div_scale_f32 v0, s[0:1], v6, v6, v7
	v_rcp_f32_e32 v1, v0
	v_div_scale_f32 v4, vcc, v7, v6, v7
	s_waitcnt vmcnt(0)
	v_fma_f32 v5, -v0, v1, 1.0
	v_fmac_f32_e32 v1, v5, v1
	v_mul_f32_e32 v5, v4, v1
	v_fma_f32 v8, -v0, v5, v4
	v_fmac_f32_e32 v5, v8, v1
	v_fma_f32 v0, -v0, v5, v4
	v_div_fmas_f32 v0, v0, v1, v5
	v_div_fixup_f32 v0, v0, v6, v7
	global_store_dword v[2:3], v0, off
.LBB25_23:
	s_endpgm
	.section	.rodata,"a",@progbits
	.p2align	6, 0x0
	.amdhsa_kernel _ZL33flash_attn_stream_k_fixup_generalILi256ELi1ELi1EEvPfPK15HIP_vector_typeIfLj2EEiiiiS1_IjLj3EES5_S5_S5_
		.amdhsa_group_segment_fixed_size 0
		.amdhsa_private_segment_fixed_size 0
		.amdhsa_kernarg_size 336
		.amdhsa_user_sgpr_count 2
		.amdhsa_user_sgpr_dispatch_ptr 0
		.amdhsa_user_sgpr_queue_ptr 0
		.amdhsa_user_sgpr_kernarg_segment_ptr 1
		.amdhsa_user_sgpr_dispatch_id 0
		.amdhsa_user_sgpr_kernarg_preload_length 0
		.amdhsa_user_sgpr_kernarg_preload_offset 0
		.amdhsa_user_sgpr_private_segment_size 0
		.amdhsa_uses_dynamic_stack 0
		.amdhsa_enable_private_segment 0
		.amdhsa_system_sgpr_workgroup_id_x 1
		.amdhsa_system_sgpr_workgroup_id_y 1
		.amdhsa_system_sgpr_workgroup_id_z 1
		.amdhsa_system_sgpr_workgroup_info 0
		.amdhsa_system_vgpr_workitem_id 0
		.amdhsa_next_free_vgpr 18
		.amdhsa_next_free_sgpr 36
		.amdhsa_accum_offset 20
		.amdhsa_reserve_vcc 1
		.amdhsa_float_round_mode_32 0
		.amdhsa_float_round_mode_16_64 0
		.amdhsa_float_denorm_mode_32 3
		.amdhsa_float_denorm_mode_16_64 3
		.amdhsa_dx10_clamp 1
		.amdhsa_ieee_mode 1
		.amdhsa_fp16_overflow 0
		.amdhsa_tg_split 0
		.amdhsa_exception_fp_ieee_invalid_op 0
		.amdhsa_exception_fp_denorm_src 0
		.amdhsa_exception_fp_ieee_div_zero 0
		.amdhsa_exception_fp_ieee_overflow 0
		.amdhsa_exception_fp_ieee_underflow 0
		.amdhsa_exception_fp_ieee_inexact 0
		.amdhsa_exception_int_div_zero 0
	.end_amdhsa_kernel
	.section	.text._ZL33flash_attn_stream_k_fixup_generalILi256ELi1ELi1EEvPfPK15HIP_vector_typeIfLj2EEiiiiS1_IjLj3EES5_S5_S5_,"axG",@progbits,_ZL33flash_attn_stream_k_fixup_generalILi256ELi1ELi1EEvPfPK15HIP_vector_typeIfLj2EEiiiiS1_IjLj3EES5_S5_S5_,comdat
.Lfunc_end25:
	.size	_ZL33flash_attn_stream_k_fixup_generalILi256ELi1ELi1EEvPfPK15HIP_vector_typeIfLj2EEiiiiS1_IjLj3EES5_S5_S5_, .Lfunc_end25-_ZL33flash_attn_stream_k_fixup_generalILi256ELi1ELi1EEvPfPK15HIP_vector_typeIfLj2EEiiiiS1_IjLj3EES5_S5_S5_
                                        ; -- End function
	.set _ZL33flash_attn_stream_k_fixup_generalILi256ELi1ELi1EEvPfPK15HIP_vector_typeIfLj2EEiiiiS1_IjLj3EES5_S5_S5_.num_vgpr, 18
	.set _ZL33flash_attn_stream_k_fixup_generalILi256ELi1ELi1EEvPfPK15HIP_vector_typeIfLj2EEiiiiS1_IjLj3EES5_S5_S5_.num_agpr, 0
	.set _ZL33flash_attn_stream_k_fixup_generalILi256ELi1ELi1EEvPfPK15HIP_vector_typeIfLj2EEiiiiS1_IjLj3EES5_S5_S5_.numbered_sgpr, 36
	.set _ZL33flash_attn_stream_k_fixup_generalILi256ELi1ELi1EEvPfPK15HIP_vector_typeIfLj2EEiiiiS1_IjLj3EES5_S5_S5_.num_named_barrier, 0
	.set _ZL33flash_attn_stream_k_fixup_generalILi256ELi1ELi1EEvPfPK15HIP_vector_typeIfLj2EEiiiiS1_IjLj3EES5_S5_S5_.private_seg_size, 0
	.set _ZL33flash_attn_stream_k_fixup_generalILi256ELi1ELi1EEvPfPK15HIP_vector_typeIfLj2EEiiiiS1_IjLj3EES5_S5_S5_.uses_vcc, 1
	.set _ZL33flash_attn_stream_k_fixup_generalILi256ELi1ELi1EEvPfPK15HIP_vector_typeIfLj2EEiiiiS1_IjLj3EES5_S5_S5_.uses_flat_scratch, 0
	.set _ZL33flash_attn_stream_k_fixup_generalILi256ELi1ELi1EEvPfPK15HIP_vector_typeIfLj2EEiiiiS1_IjLj3EES5_S5_S5_.has_dyn_sized_stack, 0
	.set _ZL33flash_attn_stream_k_fixup_generalILi256ELi1ELi1EEvPfPK15HIP_vector_typeIfLj2EEiiiiS1_IjLj3EES5_S5_S5_.has_recursion, 0
	.set _ZL33flash_attn_stream_k_fixup_generalILi256ELi1ELi1EEvPfPK15HIP_vector_typeIfLj2EEiiiiS1_IjLj3EES5_S5_S5_.has_indirect_call, 0
	.section	.AMDGPU.csdata,"",@progbits
; Kernel info:
; codeLenInByte = 2896
; TotalNumSgprs: 42
; NumVgprs: 18
; NumAgprs: 0
; TotalNumVgprs: 18
; ScratchSize: 0
; MemoryBound: 0
; FloatMode: 240
; IeeeMode: 1
; LDSByteSize: 0 bytes/workgroup (compile time only)
; SGPRBlocks: 5
; VGPRBlocks: 2
; NumSGPRsForWavesPerEU: 42
; NumVGPRsForWavesPerEU: 18
; AccumOffset: 20
; Occupancy: 8
; WaveLimiterHint : 0
; COMPUTE_PGM_RSRC2:SCRATCH_EN: 0
; COMPUTE_PGM_RSRC2:USER_SGPR: 2
; COMPUTE_PGM_RSRC2:TRAP_HANDLER: 0
; COMPUTE_PGM_RSRC2:TGID_X_EN: 1
; COMPUTE_PGM_RSRC2:TGID_Y_EN: 1
; COMPUTE_PGM_RSRC2:TGID_Z_EN: 1
; COMPUTE_PGM_RSRC2:TIDIG_COMP_CNT: 0
; COMPUTE_PGM_RSRC3_GFX90A:ACCUM_OFFSET: 4
; COMPUTE_PGM_RSRC3_GFX90A:TG_SPLIT: 0
	.section	.text._ZL26flash_attn_combine_resultsILi256EEvPKfPK15HIP_vector_typeIfLj2EEPfi,"axG",@progbits,_ZL26flash_attn_combine_resultsILi256EEvPKfPK15HIP_vector_typeIfLj2EEPfi,comdat
	.globl	_ZL26flash_attn_combine_resultsILi256EEvPKfPK15HIP_vector_typeIfLj2EEPfi ; -- Begin function _ZL26flash_attn_combine_resultsILi256EEvPKfPK15HIP_vector_typeIfLj2EEPfi
	.p2align	8
	.type	_ZL26flash_attn_combine_resultsILi256EEvPKfPK15HIP_vector_typeIfLj2EEPfi,@function
_ZL26flash_attn_combine_resultsILi256EEvPKfPK15HIP_vector_typeIfLj2EEPfi: ; @_ZL26flash_attn_combine_resultsILi256EEvPKfPK15HIP_vector_typeIfLj2EEPfi
; %bb.0:
	s_load_dwordx2 s[6:7], s[0:1], 0x20
	s_load_dword s19, s[0:1], 0x18
	s_load_dwordx4 s[8:11], s[0:1], 0x0
	s_load_dwordx2 s[14:15], s[0:1], 0x10
	s_waitcnt lgkmcnt(0)
	s_mul_i32 s0, s6, s4
	s_add_i32 s0, s0, s2
	s_mul_i32 s18, s0, s7
	s_add_i32 s18, s18, s3
	s_lshl_b32 s20, s19, 1
	s_mul_i32 s2, s18, s19
	v_cmp_gt_i32_e32 vcc, s20, v0
	s_and_saveexec_b64 s[0:1], vcc
	s_cbranch_execz .LBB26_13
; %bb.1:
	v_xad_u32 v1, v0, -1, s20
	s_movk_i32 s4, 0xff
	s_ashr_i32 s3, s2, 31
	v_cmp_lt_u32_e32 vcc, s4, v1
	s_mov_b64 s[6:7], -1
	v_mov_b32_e32 v2, v0
	s_and_saveexec_b64 s[4:5], vcc
	s_cbranch_execz .LBB26_10
; %bb.2:
	v_lshrrev_b32_e32 v6, 8, v1
	s_lshl_b64 s[6:7], s[2:3], 3
	v_add_u32_e32 v2, -1, v6
	s_add_u32 s6, s10, s6
	v_or_b32_e32 v1, 0x100, v0
	v_lshrrev_b32_e32 v3, 1, v2
	s_addc_u32 s7, s11, s7
	s_mov_b32 s21, 0
	v_add_u32_e32 v7, 1, v3
	v_cmp_lt_u32_e32 vcc, 13, v2
	v_mov_b32_e32 v4, 0
	v_mov_b64_e32 v[2:3], v[0:1]
	s_and_saveexec_b64 s[12:13], vcc
	s_cbranch_execz .LBB26_6
; %bb.3:
	v_and_b32_e32 v8, -8, v7
	v_lshl_add_u32 v9, v0, 2, 0
	s_mov_b64 s[16:17], 0
	v_mov_b32_e32 v5, 0
	v_mov_b64_e32 v[2:3], v[0:1]
.LBB26_4:                               ; =>This Inner Loop Header: Depth=1
	v_mov_b32_e32 v4, v2
	v_lshl_add_u64 v[24:25], v[4:5], 2, s[6:7]
	v_mov_b32_e32 v4, v3
	v_add_u32_e32 v10, 0x200, v3
	v_mov_b32_e32 v11, v5
	v_lshl_add_u64 v[26:27], v[4:5], 2, s[6:7]
	v_add_u32_e32 v4, 0x200, v2
	v_lshl_add_u64 v[10:11], v[10:11], 2, s[6:7]
	global_load_dword v1, v[24:25], off
	v_lshl_add_u64 v[24:25], v[4:5], 2, s[6:7]
	v_add_u32_e32 v4, 0x400, v2
	global_load_dword v28, v[26:27], off
	global_load_dword v29, v[24:25], off
	;; [unrolled: 1-line block ×3, first 2 shown]
	v_lshl_add_u64 v[10:11], v[4:5], 2, s[6:7]
	v_add_u32_e32 v4, 0x600, v2
	v_add_u32_e32 v12, 0x400, v3
	v_mov_b32_e32 v13, v5
	v_add_u32_e32 v14, 0x600, v3
	v_mov_b32_e32 v15, v5
	v_lshl_add_u64 v[24:25], v[4:5], 2, s[6:7]
	v_add_u32_e32 v4, 0x800, v2
	v_lshl_add_u64 v[12:13], v[12:13], 2, s[6:7]
	v_lshl_add_u64 v[14:15], v[14:15], 2, s[6:7]
	global_load_dword v26, v[10:11], off
	global_load_dword v27, v[12:13], off
	;; [unrolled: 1-line block ×4, first 2 shown]
	v_lshl_add_u64 v[10:11], v[4:5], 2, s[6:7]
	v_add_u32_e32 v4, 0xa00, v2
	v_add_u32_e32 v16, 0x800, v3
	v_mov_b32_e32 v17, v5
	v_add_u32_e32 v18, 0xa00, v3
	v_mov_b32_e32 v19, v5
	v_lshl_add_u64 v[12:13], v[4:5], 2, s[6:7]
	v_add_u32_e32 v4, 0xc00, v2
	v_add_u32_e32 v20, 0xc00, v3
	v_mov_b32_e32 v21, v5
	v_add_u32_e32 v22, 0xe00, v3
	v_mov_b32_e32 v23, v5
	v_lshl_add_u64 v[16:17], v[16:17], 2, s[6:7]
	v_lshl_add_u64 v[18:19], v[18:19], 2, s[6:7]
	global_load_dword v14, v[10:11], off
	global_load_dword v15, v[16:17], off
	;; [unrolled: 1-line block ×4, first 2 shown]
	v_lshl_add_u64 v[10:11], v[4:5], 2, s[6:7]
	v_add_u32_e32 v4, 0xe00, v2
	v_lshl_add_u64 v[20:21], v[20:21], 2, s[6:7]
	v_lshl_add_u64 v[22:23], v[22:23], 2, s[6:7]
	;; [unrolled: 1-line block ×3, first 2 shown]
	global_load_dword v16, v[10:11], off
	global_load_dword v17, v[20:21], off
	global_load_dword v18, v[12:13], off
	global_load_dword v19, v[22:23], off
	v_add_u32_e32 v8, -8, v8
	s_add_i32 s21, s21, 16
	v_cmp_eq_u32_e32 vcc, 0, v8
	v_add_u32_e32 v3, 0x1000, v3
	v_mov_b32_e32 v4, s21
	s_or_b64 s[16:17], vcc, s[16:17]
	v_add_u32_e32 v2, 0x1000, v2
	s_waitcnt vmcnt(14)
	ds_write2st64_b32 v9, v1, v28 offset1:4
	s_waitcnt vmcnt(12)
	ds_write2st64_b32 v9, v29, v30 offset0:8 offset1:12
	s_waitcnt vmcnt(10)
	ds_write2st64_b32 v9, v26, v27 offset0:16 offset1:20
	;; [unrolled: 2-line block ×7, first 2 shown]
	v_add_u32_e32 v9, 0x4000, v9
	s_andn2_b64 exec, exec, s[16:17]
	s_cbranch_execnz .LBB26_4
; %bb.5:
	s_or_b64 exec, exec, s[16:17]
.LBB26_6:
	s_or_b64 exec, exec, s[12:13]
	v_and_b32_e32 v1, 7, v7
	v_cmp_ne_u32_e32 vcc, 0, v1
	s_and_saveexec_b64 s[12:13], vcc
	s_cbranch_execz .LBB26_9
; %bb.7:
	v_lshlrev_b32_e32 v5, 2, v0
	v_lshl_or_b32 v4, v4, 10, v5
	v_add_u32_e32 v7, 0, v4
	s_mov_b64 s[16:17], 0
	v_mov_b32_e32 v5, 0
.LBB26_8:                               ; =>This Inner Loop Header: Depth=1
	v_mov_b32_e32 v4, v2
	v_lshl_add_u64 v[8:9], v[4:5], 2, s[6:7]
	v_mov_b32_e32 v4, v3
	v_lshl_add_u64 v[10:11], v[4:5], 2, s[6:7]
	global_load_dword v4, v[8:9], off
	global_load_dword v12, v[10:11], off
	v_add_u32_e32 v1, -1, v1
	v_cmp_eq_u32_e32 vcc, 0, v1
	v_add_u32_e32 v2, 0x200, v2
	v_add_u32_e32 v3, 0x200, v3
	s_or_b64 s[16:17], vcc, s[16:17]
	s_waitcnt vmcnt(0)
	ds_write2st64_b32 v7, v4, v12 offset1:4
	v_add_u32_e32 v7, 0x800, v7
	s_andn2_b64 exec, exec, s[16:17]
	s_cbranch_execnz .LBB26_8
.LBB26_9:
	s_or_b64 exec, exec, s[12:13]
	v_add_u32_e32 v1, 1, v6
	v_and_b32_e32 v3, 0x1fffffe, v1
	v_cmp_ne_u32_e32 vcc, v1, v3
	v_lshl_or_b32 v2, v3, 8, v0
	s_orn2_b64 s[6:7], vcc, exec
.LBB26_10:
	s_or_b64 exec, exec, s[4:5]
	s_and_b64 exec, exec, s[6:7]
	s_cbranch_execz .LBB26_13
; %bb.11:
	s_lshl_b64 s[4:5], s[2:3], 3
	s_add_u32 s4, s10, s4
	v_mov_b32_e32 v3, 0
	s_addc_u32 s5, s11, s5
	v_lshl_add_u64 v[4:5], v[2:3], 2, s[4:5]
	v_lshl_add_u32 v1, v2, 2, 0
	s_mov_b64 s[4:5], 0
	s_mov_b64 s[6:7], 0x400
.LBB26_12:                              ; =>This Inner Loop Header: Depth=1
	global_load_dword v3, v[4:5], off
	v_add_u32_e32 v2, 0x100, v2
	v_cmp_le_i32_e32 vcc, s20, v2
	v_lshl_add_u64 v[4:5], v[4:5], 0, s[6:7]
	s_or_b64 s[4:5], vcc, s[4:5]
	s_waitcnt vmcnt(0)
	ds_write_b32 v1, v3
	v_add_u32_e32 v1, 0x400, v1
	s_andn2_b64 exec, exec, s[4:5]
	s_cbranch_execnz .LBB26_12
.LBB26_13:
	s_or_b64 exec, exec, s[0:1]
	v_mov_b32_e32 v1, 0
	s_waitcnt lgkmcnt(0)
	s_barrier
	ds_read_b32 v1, v1
	s_cmp_lt_i32 s19, 2
	s_cbranch_scc1 .LBB26_21
; %bb.14:
	s_cmp_eq_u32 s19, 2
	s_cbranch_scc1 .LBB26_18
; %bb.15:
	s_add_i32 s3, s19, -1
	s_and_b32 s4, s3, -2
	s_add_i32 s6, 0, 8
	s_mov_b32 s5, 2
	s_waitcnt lgkmcnt(0)
	v_mov_b32_e32 v4, v1
.LBB26_16:                              ; =>This Inner Loop Header: Depth=1
	v_mov_b32_e32 v2, v1
	v_mov_b32_e32 v1, s6
	;; [unrolled: 1-line block ×3, first 2 shown]
	ds_read2_b32 v[4:5], v1 offset1:2
	s_cmp_lg_u32 s4, s5
	s_cselect_b64 s[10:11], -1, 0
	v_max_f32_e32 v1, v3, v3
	v_max_f32_e32 v6, v2, v2
	s_waitcnt lgkmcnt(0)
	v_cmp_u_f32_e32 vcc, v5, v5
	v_max_f32_e32 v7, v5, v5
	v_max_f32_e32 v8, v4, v4
	v_cndmask_b32_e64 v5, 0, 1, vcc
	v_cmp_u_f32_e32 vcc, v4, v4
	v_readfirstlane_b32 s0, v5
	s_lshl_b32 s0, s0, 1
	v_cndmask_b32_e64 v9, 0, 1, vcc
	v_max_f32_e32 v4, v1, v7
	v_readfirstlane_b32 s1, v9
	s_or_b32 s0, s1, s0
	s_and_b32 s7, s0, 3
	s_cmp_lg_u32 s7, 0
	s_cselect_b64 s[0:1], -1, 0
	s_cmp_eq_u32 s7, 0
	s_cselect_b64 s[12:13], -1, 0
	s_and_b64 s[10:11], s[12:13], s[10:11]
	v_max_f32_e32 v1, v6, v8
	s_add_i32 s5, s5, 2
	s_add_i32 s6, s6, 16
	s_and_b64 vcc, exec, s[10:11]
	s_cbranch_vccnz .LBB26_16
; %bb.17:
	s_add_i32 s5, s5, -4
	s_and_b64 s[6:7], s[0:1], exec
	s_cselect_b32 s5, s5, s3
	s_or_b32 s5, s5, 1
	v_cndmask_b32_e64 v1, v1, v2, s[0:1]
	v_cndmask_b32_e64 v2, v4, v3, s[0:1]
	s_cmp_lg_u32 s3, s4
	v_max_f32_e32 v2, v2, v2
	v_max_f32_e32 v1, v1, v1
	s_cselect_b64 s[6:7], -1, 0
	v_max_f32_e32 v1, v1, v2
	s_or_b64 s[0:1], s[6:7], s[0:1]
	s_and_b64 vcc, exec, s[0:1]
	s_cbranch_vccnz .LBB26_19
	s_branch .LBB26_21
.LBB26_18:
	s_mov_b32 s5, 1
	s_cbranch_execz .LBB26_21
.LBB26_19:
	s_lshl_b32 s1, s5, 3
	s_sub_i32 s0, s19, s5
	s_add_i32 s1, s1, 0
.LBB26_20:                              ; =>This Inner Loop Header: Depth=1
	v_mov_b32_e32 v2, s1
	ds_read_b32 v2, v2
	s_waitcnt lgkmcnt(1)
	v_max_f32_e32 v1, v1, v1
	s_add_i32 s0, s0, -1
	s_add_i32 s1, s1, 8
	s_cmp_eq_u32 s0, 0
	s_waitcnt lgkmcnt(0)
	v_max_f32_e32 v2, v2, v2
	v_max_f32_e32 v1, v1, v2
	s_cbranch_scc0 .LBB26_20
.LBB26_21:
	s_cmp_lt_i32 s19, 1
	s_cbranch_scc1 .LBB26_26
; %bb.22:
	s_lshl_b32 s0, s2, 8
	s_ashr_i32 s1, s0, 31
	s_lshl_b64 s[0:1], s[0:1], 2
	s_add_u32 s16, s8, s0
	s_addc_u32 s17, s9, s1
	s_cmp_lt_u32 s19, 8
	s_cbranch_scc1 .LBB26_27
; %bb.23:
	v_mov_b32_e32 v7, 0
	s_and_b32 s20, s19, 0x7ffffff8
	v_or_b32_e32 v4, 0x700, v0
	s_mov_b32 s21, 0
	s_mov_b32 s22, 0x3fb8aa3b
	;; [unrolled: 1-line block ×4, first 2 shown]
	v_mov_b32_e32 v8, 0x7f800000
	s_mov_b32 s25, 0
	v_mov_b32_e32 v2, v7
	v_mov_b32_e32 v3, v7
.LBB26_24:                              ; =>This Inner Loop Header: Depth=1
	v_add_u32_e32 v6, 0xfffff900, v4
	v_lshl_add_u64 v[26:27], v[6:7], 2, s[16:17]
	v_add_u32_e32 v6, 0xfffffa00, v4
	v_mov_b32_e32 v9, s21
	v_lshl_add_u64 v[30:31], v[6:7], 2, s[16:17]
	v_add_u32_e32 v6, 0xfffffb00, v4
	ds_read2_b64 v[10:13], v9 offset1:1
	ds_read2_b64 v[14:17], v9 offset0:2 offset1:3
	ds_read2_b64 v[18:21], v9 offset0:4 offset1:5
	;; [unrolled: 1-line block ×3, first 2 shown]
	global_load_dword v33, v[26:27], off
	global_load_dword v35, v[30:31], off
	v_lshl_add_u64 v[26:27], v[6:7], 2, s[16:17]
	v_add_u32_e32 v6, 0xfffffc00, v4
	v_lshl_add_u64 v[30:31], v[6:7], 2, s[16:17]
	v_add_u32_e32 v6, 0xfffffd00, v4
	global_load_dword v37, v[26:27], off
	global_load_dword v39, v[30:31], off
	v_lshl_add_u64 v[26:27], v[6:7], 2, s[16:17]
	v_add_u32_e32 v6, 0xfffffe00, v4
	s_waitcnt lgkmcnt(3)
	v_mov_b32_e32 v32, v11
	v_sub_f32_e32 v9, v12, v1
	v_mov_b32_e32 v34, v13
	global_load_dword v11, v[26:27], off
	v_lshl_add_u64 v[12:13], v[6:7], 2, s[16:17]
	s_waitcnt lgkmcnt(2)
	v_mov_b32_e32 v36, v15
	v_add_u32_e32 v6, 0xffffff00, v4
	global_load_dword v15, v[12:13], off
	v_mov_b32_e32 v5, v7
	v_lshl_add_u64 v[12:13], v[6:7], 2, s[16:17]
	v_lshl_add_u64 v[28:29], v[4:5], 2, s[16:17]
	v_sub_f32_e32 v5, v10, v1
	v_mov_b32_e32 v38, v17
	s_waitcnt lgkmcnt(1)
	v_mov_b32_e32 v10, v19
	global_load_dword v17, v[12:13], off
	global_load_dword v19, v[28:29], off
	v_sub_f32_e32 v30, v14, v1
	v_sub_f32_e32 v31, v16, v1
	;; [unrolled: 1-line block ×3, first 2 shown]
	v_mov_b32_e32 v14, v21
	s_waitcnt lgkmcnt(0)
	v_sub_f32_e32 v21, v22, v1
	v_mov_b32_e32 v16, v23
	v_sub_f32_e32 v22, v24, v1
	v_mul_f32_e32 v23, 0x3fb8aa3b, v5
	v_mov_b32_e32 v18, v25
	v_mul_f32_e32 v24, 0x3fb8aa3b, v9
	v_mul_f32_e32 v25, 0x3fb8aa3b, v30
	;; [unrolled: 1-line block ×5, first 2 shown]
	v_fma_f32 v43, v5, s22, -v23
	v_rndne_f32_e32 v44, v23
	v_sub_f32_e32 v20, v20, v1
	v_fma_f32 v45, v9, s22, -v24
	v_rndne_f32_e32 v46, v24
	v_fma_f32 v47, v30, s22, -v25
	v_rndne_f32_e32 v48, v25
	;; [unrolled: 2-line block ×5, first 2 shown]
	v_fmac_f32_e32 v43, 0x32a5705f, v5
	v_sub_f32_e32 v12, v23, v44
	v_mul_f32_e32 v26, 0x3fb8aa3b, v31
	v_mul_f32_e32 v41, 0x3fb8aa3b, v20
	v_fmac_f32_e32 v45, 0x32a5705f, v9
	v_sub_f32_e32 v23, v24, v46
	v_fmac_f32_e32 v47, 0x32a5705f, v30
	v_sub_f32_e32 v25, v25, v48
	v_fmac_f32_e32 v51, 0x32a5705f, v40
	v_sub_f32_e32 v27, v27, v52
	v_fmac_f32_e32 v55, 0x32a5705f, v21
	v_sub_f32_e32 v42, v42, v56
	v_fmac_f32_e32 v57, 0x32a5705f, v22
	v_sub_f32_e32 v6, v6, v58
	v_add_f32_e32 v12, v12, v43
	v_fma_f32 v49, v31, s22, -v26
	v_rndne_f32_e32 v50, v26
	v_fma_f32 v53, v20, s22, -v41
	v_rndne_f32_e32 v54, v41
	v_cvt_i32_f32_e32 v13, v44
	v_add_f32_e32 v23, v23, v45
	v_add_f32_e32 v25, v25, v47
	;; [unrolled: 1-line block ×5, first 2 shown]
	v_exp_f32_e32 v12, v12
	v_cvt_i32_f32_e32 v24, v46
	v_cvt_i32_f32_e32 v28, v48
	v_fmac_f32_e32 v49, 0x32a5705f, v31
	v_sub_f32_e32 v26, v26, v50
	v_cvt_i32_f32_e32 v29, v50
	v_cvt_i32_f32_e32 v44, v52
	v_fmac_f32_e32 v53, 0x32a5705f, v20
	v_sub_f32_e32 v41, v41, v54
	v_cvt_i32_f32_e32 v48, v56
	v_cvt_i32_f32_e32 v50, v58
	v_exp_f32_e32 v23, v23
	v_exp_f32_e32 v25, v25
	;; [unrolled: 1-line block ×5, first 2 shown]
	v_add_f32_e32 v26, v26, v49
	v_add_f32_e32 v41, v41, v53
	v_cvt_i32_f32_e32 v46, v54
	v_exp_f32_e32 v26, v26
	v_exp_f32_e32 v41, v41
	v_ldexp_f32 v12, v12, v13
	v_cmp_ngt_f32_e64 s[12:13], s23, v5
	v_ldexp_f32 v13, v23, v24
	v_cmp_ngt_f32_e32 vcc, s23, v9
	v_ldexp_f32 v23, v25, v28
	v_ldexp_f32 v25, v27, v44
	;; [unrolled: 1-line block ×3, first 2 shown]
	v_cmp_ngt_f32_e64 s[8:9], s23, v21
	v_ldexp_f32 v6, v6, v50
	v_cmp_ngt_f32_e64 s[10:11], s23, v22
	v_cndmask_b32_e64 v12, 0, v12, s[12:13]
	v_cmp_nlt_f32_e64 s[12:13], s24, v5
	v_cmp_ngt_f32_e64 s[0:1], s23, v30
	v_cndmask_b32_e32 v13, 0, v13, vcc
	v_cmp_nlt_f32_e32 vcc, s24, v9
	v_cndmask_b32_e64 v27, 0, v27, s[8:9]
	v_cmp_nlt_f32_e64 s[8:9], s24, v21
	v_cndmask_b32_e64 v21, 0, v6, s[10:11]
	v_cndmask_b32_e64 v6, v8, v12, s[12:13]
	v_ldexp_f32 v24, v26, v29
	v_cmp_ngt_f32_e64 s[2:3], s23, v31
	v_cmp_ngt_f32_e64 s[4:5], s23, v40
	v_ldexp_f32 v26, v41, v46
	v_cmp_ngt_f32_e64 s[6:7], s23, v20
	v_cndmask_b32_e64 v9, 0, v23, s[0:1]
	v_cmp_nlt_f32_e64 s[0:1], s24, v30
	v_cndmask_b32_e32 v12, v8, v13, vcc
	s_waitcnt vmcnt(7)
	v_pk_fma_f32 v[2:3], v[6:7], v[32:33], v[2:3] op_sel_hi:[0,1,1]
	v_cndmask_b32_e64 v23, 0, v24, s[2:3]
	v_cmp_nlt_f32_e64 s[2:3], s24, v31
	v_cndmask_b32_e64 v24, 0, v25, s[4:5]
	v_cndmask_b32_e64 v25, 0, v26, s[6:7]
	v_cmp_nlt_f32_e64 s[6:7], s24, v20
	v_cndmask_b32_e64 v20, v8, v9, s[0:1]
	s_waitcnt vmcnt(6)
	v_pk_fma_f32 v[2:3], v[12:13], v[34:35], v[2:3] op_sel_hi:[0,1,1]
	v_cmp_nlt_f32_e64 s[4:5], s24, v40
	v_cmp_nlt_f32_e64 s[10:11], s24, v22
	v_cndmask_b32_e64 v22, v8, v23, s[2:3]
	s_waitcnt vmcnt(5)
	v_pk_fma_f32 v[2:3], v[20:21], v[36:37], v[2:3] op_sel_hi:[0,1,1]
	v_cndmask_b32_e64 v24, v8, v24, s[4:5]
	s_waitcnt vmcnt(4)
	v_pk_fma_f32 v[2:3], v[22:23], v[38:39], v[2:3] op_sel_hi:[0,1,1]
	;; [unrolled: 3-line block ×4, first 2 shown]
	s_add_i32 s25, s25, 8
	s_add_i32 s21, s21, 64
	v_cndmask_b32_e64 v30, v8, v21, s[10:11]
	s_waitcnt vmcnt(1)
	v_pk_fma_f32 v[2:3], v[28:29], v[16:17], v[2:3] op_sel_hi:[0,1,1]
	s_cmp_eq_u32 s20, s25
	v_add_u32_e32 v4, 0x800, v4
	s_waitcnt vmcnt(0)
	v_pk_fma_f32 v[2:3], v[30:31], v[18:19], v[2:3] op_sel_hi:[0,1,1]
	s_cbranch_scc0 .LBB26_24
; %bb.25:
	s_and_b32 s0, s19, 7
	s_cmp_eq_u32 s0, 0
	s_cbranch_scc0 .LBB26_28
	s_branch .LBB26_30
.LBB26_26:
	s_waitcnt lgkmcnt(0)
	v_mov_b32_e32 v1, 0x7fc00000
	s_branch .LBB26_31
.LBB26_27:
	v_mov_b32_e32 v2, 0
	s_mov_b32 s20, 0
	v_mov_b32_e32 v3, v2
	s_and_b32 s0, s19, 7
	s_cmp_eq_u32 s0, 0
	s_cbranch_scc1 .LBB26_30
.LBB26_28:
	s_lshl_b32 s1, s20, 3
	v_lshl_or_b32 v4, s20, 8, v0
	s_add_i32 s1, s1, 0
	s_mov_b32 s2, 0x3fb8aa3b
	s_mov_b32 s3, 0xc2ce8ed0
	;; [unrolled: 1-line block ×3, first 2 shown]
	v_mov_b32_e32 v6, 0x7f800000
	v_mov_b32_e32 v5, 0
.LBB26_29:                              ; =>This Inner Loop Header: Depth=1
	v_lshl_add_u64 v[8:9], v[4:5], 2, s[16:17]
	global_load_dword v9, v[8:9], off
	v_mov_b32_e32 v7, s1
	ds_read_b64 v[10:11], v7
	s_add_i32 s1, s1, 8
	s_add_i32 s0, s0, -1
	v_add_u32_e32 v4, 0x100, v4
	s_cmp_lg_u32 s0, 0
	s_waitcnt lgkmcnt(0)
	v_sub_f32_e32 v7, v10, v1
	v_mul_f32_e32 v8, 0x3fb8aa3b, v7
	v_fma_f32 v10, v7, s2, -v8
	v_rndne_f32_e32 v12, v8
	v_fmac_f32_e32 v10, 0x32a5705f, v7
	v_sub_f32_e32 v8, v8, v12
	v_add_f32_e32 v8, v8, v10
	v_cvt_i32_f32_e32 v12, v12
	v_exp_f32_e32 v10, v8
	v_cmp_ngt_f32_e32 vcc, s3, v7
	v_mov_b32_e32 v8, v11
	v_ldexp_f32 v10, v10, v12
	v_cndmask_b32_e32 v10, 0, v10, vcc
	v_cmp_nlt_f32_e32 vcc, s4, v7
	s_nop 1
	v_cndmask_b32_e32 v10, v6, v10, vcc
	s_waitcnt vmcnt(0)
	v_pk_fma_f32 v[2:3], v[10:11], v[8:9], v[2:3] op_sel_hi:[0,1,1]
	s_cbranch_scc1 .LBB26_29
.LBB26_30:
	s_waitcnt lgkmcnt(0)
	v_div_scale_f32 v1, s[0:1], v2, v2, v3
	v_rcp_f32_e32 v4, v1
	v_div_scale_f32 v5, vcc, v3, v2, v3
	v_fma_f32 v6, -v1, v4, 1.0
	v_fmac_f32_e32 v4, v6, v4
	v_mul_f32_e32 v6, v5, v4
	v_fma_f32 v7, -v1, v6, v5
	v_fmac_f32_e32 v6, v7, v4
	v_fma_f32 v1, -v1, v6, v5
	v_div_fmas_f32 v1, v1, v4, v6
	v_div_fixup_f32 v1, v1, v2, v3
.LBB26_31:
	s_lshl_b32 s0, s18, 8
	s_ashr_i32 s1, s0, 31
	s_lshl_b64 s[0:1], s[0:1], 2
	s_add_u32 s0, s14, s0
	s_addc_u32 s1, s15, s1
	v_lshlrev_b32_e32 v0, 2, v0
	global_store_dword v0, v1, s[0:1]
	s_endpgm
	.section	.rodata,"a",@progbits
	.p2align	6, 0x0
	.amdhsa_kernel _ZL26flash_attn_combine_resultsILi256EEvPKfPK15HIP_vector_typeIfLj2EEPfi
		.amdhsa_group_segment_fixed_size 0
		.amdhsa_private_segment_fixed_size 0
		.amdhsa_kernarg_size 288
		.amdhsa_user_sgpr_count 2
		.amdhsa_user_sgpr_dispatch_ptr 0
		.amdhsa_user_sgpr_queue_ptr 0
		.amdhsa_user_sgpr_kernarg_segment_ptr 1
		.amdhsa_user_sgpr_dispatch_id 0
		.amdhsa_user_sgpr_kernarg_preload_length 0
		.amdhsa_user_sgpr_kernarg_preload_offset 0
		.amdhsa_user_sgpr_private_segment_size 0
		.amdhsa_uses_dynamic_stack 0
		.amdhsa_enable_private_segment 0
		.amdhsa_system_sgpr_workgroup_id_x 1
		.amdhsa_system_sgpr_workgroup_id_y 1
		.amdhsa_system_sgpr_workgroup_id_z 1
		.amdhsa_system_sgpr_workgroup_info 0
		.amdhsa_system_vgpr_workitem_id 0
		.amdhsa_next_free_vgpr 59
		.amdhsa_next_free_sgpr 26
		.amdhsa_accum_offset 60
		.amdhsa_reserve_vcc 1
		.amdhsa_float_round_mode_32 0
		.amdhsa_float_round_mode_16_64 0
		.amdhsa_float_denorm_mode_32 3
		.amdhsa_float_denorm_mode_16_64 3
		.amdhsa_dx10_clamp 1
		.amdhsa_ieee_mode 1
		.amdhsa_fp16_overflow 0
		.amdhsa_tg_split 0
		.amdhsa_exception_fp_ieee_invalid_op 0
		.amdhsa_exception_fp_denorm_src 0
		.amdhsa_exception_fp_ieee_div_zero 0
		.amdhsa_exception_fp_ieee_overflow 0
		.amdhsa_exception_fp_ieee_underflow 0
		.amdhsa_exception_fp_ieee_inexact 0
		.amdhsa_exception_int_div_zero 0
	.end_amdhsa_kernel
	.section	.text._ZL26flash_attn_combine_resultsILi256EEvPKfPK15HIP_vector_typeIfLj2EEPfi,"axG",@progbits,_ZL26flash_attn_combine_resultsILi256EEvPKfPK15HIP_vector_typeIfLj2EEPfi,comdat
.Lfunc_end26:
	.size	_ZL26flash_attn_combine_resultsILi256EEvPKfPK15HIP_vector_typeIfLj2EEPfi, .Lfunc_end26-_ZL26flash_attn_combine_resultsILi256EEvPKfPK15HIP_vector_typeIfLj2EEPfi
                                        ; -- End function
	.set _ZL26flash_attn_combine_resultsILi256EEvPKfPK15HIP_vector_typeIfLj2EEPfi.num_vgpr, 59
	.set _ZL26flash_attn_combine_resultsILi256EEvPKfPK15HIP_vector_typeIfLj2EEPfi.num_agpr, 0
	.set _ZL26flash_attn_combine_resultsILi256EEvPKfPK15HIP_vector_typeIfLj2EEPfi.numbered_sgpr, 26
	.set _ZL26flash_attn_combine_resultsILi256EEvPKfPK15HIP_vector_typeIfLj2EEPfi.num_named_barrier, 0
	.set _ZL26flash_attn_combine_resultsILi256EEvPKfPK15HIP_vector_typeIfLj2EEPfi.private_seg_size, 0
	.set _ZL26flash_attn_combine_resultsILi256EEvPKfPK15HIP_vector_typeIfLj2EEPfi.uses_vcc, 1
	.set _ZL26flash_attn_combine_resultsILi256EEvPKfPK15HIP_vector_typeIfLj2EEPfi.uses_flat_scratch, 0
	.set _ZL26flash_attn_combine_resultsILi256EEvPKfPK15HIP_vector_typeIfLj2EEPfi.has_dyn_sized_stack, 0
	.set _ZL26flash_attn_combine_resultsILi256EEvPKfPK15HIP_vector_typeIfLj2EEPfi.has_recursion, 0
	.set _ZL26flash_attn_combine_resultsILi256EEvPKfPK15HIP_vector_typeIfLj2EEPfi.has_indirect_call, 0
	.section	.AMDGPU.csdata,"",@progbits
; Kernel info:
; codeLenInByte = 2924
; TotalNumSgprs: 32
; NumVgprs: 59
; NumAgprs: 0
; TotalNumVgprs: 59
; ScratchSize: 0
; MemoryBound: 0
; FloatMode: 240
; IeeeMode: 1
; LDSByteSize: 0 bytes/workgroup (compile time only)
; SGPRBlocks: 3
; VGPRBlocks: 7
; NumSGPRsForWavesPerEU: 32
; NumVGPRsForWavesPerEU: 59
; AccumOffset: 60
; Occupancy: 8
; WaveLimiterHint : 0
; COMPUTE_PGM_RSRC2:SCRATCH_EN: 0
; COMPUTE_PGM_RSRC2:USER_SGPR: 2
; COMPUTE_PGM_RSRC2:TRAP_HANDLER: 0
; COMPUTE_PGM_RSRC2:TGID_X_EN: 1
; COMPUTE_PGM_RSRC2:TGID_Y_EN: 1
; COMPUTE_PGM_RSRC2:TGID_Z_EN: 1
; COMPUTE_PGM_RSRC2:TIDIG_COMP_CNT: 0
; COMPUTE_PGM_RSRC3_GFX90A:ACCUM_OFFSET: 14
; COMPUTE_PGM_RSRC3_GFX90A:TG_SPLIT: 0
	.section	.text._ZL18flash_attn_ext_vecILi256ELi1EL9ggml_type3ELS0_30ELb1EEvPKcS2_S2_S2_S2_PKiPfP15HIP_vector_typeIfLj2EEffffjfiS6_IjLj3EEiiiiiiiiiiiliiliiiiil,"axG",@progbits,_ZL18flash_attn_ext_vecILi256ELi1EL9ggml_type3ELS0_30ELb1EEvPKcS2_S2_S2_S2_PKiPfP15HIP_vector_typeIfLj2EEffffjfiS6_IjLj3EEiiiiiiiiiiiliiliiiiil,comdat
	.globl	_ZL18flash_attn_ext_vecILi256ELi1EL9ggml_type3ELS0_30ELb1EEvPKcS2_S2_S2_S2_PKiPfP15HIP_vector_typeIfLj2EEffffjfiS6_IjLj3EEiiiiiiiiiiiliiliiiiil ; -- Begin function _ZL18flash_attn_ext_vecILi256ELi1EL9ggml_type3ELS0_30ELb1EEvPKcS2_S2_S2_S2_PKiPfP15HIP_vector_typeIfLj2EEffffjfiS6_IjLj3EEiiiiiiiiiiiliiliiiiil
	.p2align	8
	.type	_ZL18flash_attn_ext_vecILi256ELi1EL9ggml_type3ELS0_30ELb1EEvPKcS2_S2_S2_S2_PKiPfP15HIP_vector_typeIfLj2EEffffjfiS6_IjLj3EEiiiiiiiiiiiliiliiiiil,@function
_ZL18flash_attn_ext_vecILi256ELi1EL9ggml_type3ELS0_30ELb1EEvPKcS2_S2_S2_S2_PKiPfP15HIP_vector_typeIfLj2EEffffjfiS6_IjLj3EEiiiiiiiiiiiliiliiiiil: ; @_ZL18flash_attn_ext_vecILi256ELi1EL9ggml_type3ELS0_30ELb1EEvPKcS2_S2_S2_S2_PKiPfP15HIP_vector_typeIfLj2EEffffjfiS6_IjLj3EEiiiiiiiiiiiliiliiiiil
; %bb.0:
	s_load_dwordx2 s[34:35], s[0:1], 0x64
	s_load_dwordx2 s[42:43], s[0:1], 0x80
	;; [unrolled: 1-line block ×3, first 2 shown]
	s_load_dwordx4 s[8:11], s[0:1], 0x40
	s_load_dwordx2 s[44:45], s[0:1], 0x50
	s_waitcnt lgkmcnt(0)
	v_cvt_f32_u32_e32 v1, s35
	s_sub_i32 s5, 0, s35
	v_mov_b32_e32 v74, 1.0
	s_mov_b32 s36, s8
	v_rcp_iflag_f32_e32 v1, v1
	s_mov_b32 s37, s9
	v_mul_f32_e32 v1, 0x4f7ffffe, v1
	v_cvt_u32_f32_e32 v1, v1
	s_nop 0
	v_readfirstlane_b32 s6, v1
	s_mul_i32 s5, s5, s6
	s_mul_hi_u32 s5, s6, s5
	s_add_i32 s6, s6, s5
	s_mul_hi_u32 s5, s4, s6
	s_mul_i32 s6, s5, s35
	s_sub_i32 s6, s4, s6
	s_add_i32 s7, s5, 1
	s_sub_i32 s14, s6, s35
	s_cmp_ge_u32 s6, s35
	s_cselect_b32 s5, s7, s5
	s_cselect_b32 s6, s14, s6
	s_add_i32 s7, s5, 1
	s_cmp_ge_u32 s6, s35
	s_cselect_b32 s33, s7, s5
	s_abs_i32 s5, s43
	v_cvt_f32_u32_e32 v1, s5
	s_mul_i32 s14, s33, s35
	s_sub_i32 s15, 0, s5
	s_sub_i32 s40, s4, s14
	v_rcp_iflag_f32_e32 v1, v1
	s_abs_i32 s7, s35
	s_xor_b32 s6, s35, s43
	s_ashr_i32 s6, s6, 31
	v_mul_f32_e32 v1, 0x4f7ffffe, v1
	v_cvt_u32_f32_e32 v1, v1
	s_nop 0
	v_readfirstlane_b32 s4, v1
	s_mul_i32 s15, s15, s4
	s_mul_hi_u32 s14, s4, s15
	s_add_i32 s4, s4, s14
	s_mul_hi_u32 s4, s7, s4
	s_mul_i32 s14, s4, s5
	s_sub_i32 s7, s7, s14
	s_add_i32 s15, s4, 1
	s_sub_i32 s14, s7, s5
	s_cmp_ge_u32 s7, s5
	s_cselect_b32 s4, s15, s4
	s_cselect_b32 s7, s14, s7
	s_add_i32 s14, s4, 1
	s_cmp_ge_u32 s7, s5
	s_cselect_b32 s4, s14, s4
	s_xor_b32 s4, s4, s6
	s_sub_i32 s38, s4, s6
	s_abs_i32 s48, s38
	s_abs_i32 s12, s12
	v_cvt_f32_u32_e32 v1, s48
	v_cvt_f32_u32_e32 v2, s12
	s_sub_i32 s4, 0, s12
	s_sub_i32 s5, 0, s48
	v_rcp_iflag_f32_e32 v1, v1
	v_rcp_iflag_f32_e32 v2, v2
	s_abs_i32 s49, s40
	s_abs_i32 s43, s33
	v_mul_f32_e32 v1, 0x4f7ffffe, v1
	v_mul_f32_e32 v2, 0x4f7ffffe, v2
	v_cvt_u32_f32_e32 v1, v1
	v_cvt_u32_f32_e32 v2, v2
	v_readfirstlane_b32 s14, v1
	v_readfirstlane_b32 s15, v2
	s_mul_i32 s5, s5, s14
	s_mul_i32 s4, s4, s15
	s_mul_hi_u32 s5, s14, s5
	s_mul_hi_u32 s4, s15, s4
	s_add_i32 s14, s14, s5
	s_add_i32 s15, s15, s4
	v_cmp_le_f32_e64 s[4:5], s9, 0
	s_and_b64 vcc, exec, s[4:5]
	s_cbranch_vccnz .LBB27_2
; %bb.1:
	v_mov_b32_e32 v1, s44
	v_sub_co_u32_e32 v1, vcc, s40, v1
	v_mov_b32_e32 v2, s11
	v_mov_b32_e32 v3, s10
	s_add_i32 s4, s40, 1
	v_lshlrev_b32_e32 v1, 1, v1
	v_cndmask_b32_e32 v2, v2, v3, vcc
	v_or_b32_e32 v1, 1, v1
	v_mov_b32_e32 v3, s4
	v_cndmask_b32_e32 v1, v1, v3, vcc
	v_cvt_f32_i32_e32 v1, v1
	v_cmp_neq_f32_e32 vcc, 1.0, v2
	s_mov_b32 s4, 0x3f2aaaab
	s_movk_i32 s6, 0x204
	v_cndmask_b32_e32 v1, 1.0, v1, vcc
	v_cmp_neq_f32_e32 vcc, 0, v1
	s_mov_b32 s5, 0x42b17218
	s_mov_b32 s7, 0x3fb8aa3b
	v_cndmask_b32_e32 v18, 1.0, v2, vcc
	v_frexp_mant_f32_e64 v2, |v18|
	v_cmp_gt_f32_e32 vcc, s4, v2
	s_mov_b32 s4, 0x3f317218
	s_brev_b32 s9, -2
	v_cndmask_b32_e64 v3, 1.0, 2.0, vcc
	v_mul_f32_e32 v2, v2, v3
	v_add_f32_e32 v5, 1.0, v2
	v_rcp_f32_e32 v10, v5
	v_add_f32_e32 v3, -1.0, v5
	v_sub_f32_e32 v7, v2, v3
	v_add_f32_e32 v3, -1.0, v2
	v_mul_f32_e32 v11, v3, v10
	v_mul_f32_e32 v4, v5, v11
	v_fma_f32 v6, v11, v5, -v4
	v_fmac_f32_e32 v6, v11, v7
	v_add_f32_e32 v2, v4, v6
	v_sub_f32_e32 v5, v3, v2
	v_pk_add_f32 v[8:9], v[2:3], v[4:5] neg_lo:[0,1] neg_hi:[0,1]
	v_mov_b32_e32 v7, v2
	v_pk_add_f32 v[2:3], v[8:9], v[6:7] neg_lo:[0,1] neg_hi:[0,1]
	v_mov_b32_e32 v6, 0x3e91f4c4
	v_add_f32_e32 v2, v2, v3
	v_add_f32_e32 v2, v5, v2
	v_mul_f32_e32 v3, v10, v2
	v_add_f32_e32 v2, v11, v3
	v_sub_f32_e32 v4, v2, v11
	v_sub_f32_e32 v12, v3, v4
	v_mul_f32_e32 v3, v2, v2
	v_fma_f32 v5, v2, v2, -v3
	v_add_f32_e32 v4, v12, v12
	v_fmac_f32_e32 v5, v2, v4
	v_add_f32_e32 v4, v3, v5
	v_fmac_f32_e32 v6, 0x3e76c4e1, v4
	v_fmaak_f32 v6, v4, v6, 0x3ecccdef
	v_sub_f32_e32 v3, v4, v3
	v_sub_f32_e32 v13, v5, v3
	v_mul_f32_e32 v3, v4, v6
	v_fma_f32 v5, v4, v6, -v3
	v_fmac_f32_e32 v5, v13, v6
	v_add_f32_e32 v6, v3, v5
	v_add_f32_e32 v7, 0x3f2aaaaa, v6
	v_sub_f32_e32 v3, v6, v3
	v_sub_f32_e32 v3, v5, v3
	v_add_f32_e32 v5, 0xbf2aaaaa, v7
	v_add_f32_e32 v3, 0x31739010, v3
	v_sub_f32_e32 v5, v6, v5
	v_pk_mul_f32 v[8:9], v[2:3], v[4:5]
	v_pk_add_f32 v[10:11], v[2:3], v[4:5]
	v_fma_f32 v6, v4, v2, -v8
	v_fmac_f32_e32 v6, v4, v12
	v_mov_b32_e32 v9, v11
	v_fmac_f32_e32 v6, v13, v2
	v_pk_add_f32 v[4:5], v[8:9], v[6:7]
	v_ldexp_f32 v14, v12, 1
	v_sub_f32_e32 v3, v4, v8
	v_sub_f32_e32 v3, v6, v3
	;; [unrolled: 1-line block ×3, first 2 shown]
	v_add_f32_e32 v9, v11, v6
	v_pk_mul_f32 v[6:7], v[4:5], v[4:5] op_sel:[0,1] op_sel_hi:[1,0]
	v_cvt_f64_f32_e64 v[10:11], |v18|
	v_frexp_exp_i32_f64_e32 v7, v[10:11]
	v_subbrev_co_u32_e32 v7, vcc, 0, v7, vcc
	v_cvt_f32_i32_e32 v7, v7
	v_fma_f32 v8, v4, v5, -v6
	v_fmac_f32_e32 v8, v4, v9
	v_fmac_f32_e32 v8, v3, v5
	v_mul_f32_e32 v4, 0x3f317218, v7
	v_fma_f32 v3, v7, s4, -v4
	v_fmamk_f32 v10, v7, 0xb102e308, v3
	v_ldexp_f32 v11, v2, 1
	v_add_f32_e32 v5, v6, v8
	v_pk_add_f32 v[2:3], v[4:5], v[10:11]
	v_mov_b32_e32 v12, v5
	v_mov_b32_e32 v13, v3
	;; [unrolled: 1-line block ×3, first 2 shown]
	v_pk_add_f32 v[6:7], v[12:13], v[6:7] neg_lo:[0,1] neg_hi:[0,1]
	v_mov_b32_e32 v9, v5
	v_pk_add_f32 v[6:7], v[8:9], v[6:7] neg_lo:[0,1] neg_hi:[0,1]
	v_mov_b32_e32 v11, v2
	v_add_f32_e32 v5, v14, v6
	v_add_f32_e32 v5, v5, v7
	v_pk_add_f32 v[6:7], v[2:3], v[4:5] neg_lo:[0,1] neg_hi:[0,1]
	v_pk_add_f32 v[8:9], v[2:3], v[4:5]
	v_mov_b32_e32 v16, v3
	v_mov_b32_e32 v7, v9
	v_pk_add_f32 v[12:13], v[10:11], v[6:7] neg_lo:[0,1] neg_hi:[0,1]
	v_pk_add_f32 v[6:7], v[10:11], v[6:7]
	v_mov_b32_e32 v4, v5
	v_pk_add_f32 v[10:11], v[6:7], v[2:3] op_sel:[1,0] op_sel_hi:[0,1] neg_lo:[0,1] neg_hi:[0,1]
	v_pk_add_f32 v[14:15], v[8:9], v[10:11] op_sel_hi:[1,0] neg_lo:[0,1] neg_hi:[0,1]
	v_mov_b32_e32 v8, v9
	v_mov_b32_e32 v9, v7
	;; [unrolled: 1-line block ×3, first 2 shown]
	v_pk_add_f32 v[8:9], v[8:9], v[16:17] neg_lo:[0,1] neg_hi:[0,1]
	v_mov_b32_e32 v5, v2
	v_pk_add_f32 v[2:3], v[4:5], v[8:9] neg_lo:[0,1] neg_hi:[0,1]
	v_mov_b32_e32 v14, v12
	v_pk_add_f32 v[4:5], v[14:15], v[2:3]
	v_mov_b32_e32 v13, v7
	v_pk_add_f32 v[8:9], v[4:5], v[4:5] op_sel:[0,1] op_sel_hi:[1,0]
	s_mov_b32 s4, 0x7f800000
	v_pk_add_f32 v[6:7], v[6:7], v[8:9] op_sel:[1,0] op_sel_hi:[0,1]
	v_mov_b32_e32 v5, v6
	v_pk_add_f32 v[10:11], v[4:5], v[12:13] neg_lo:[0,1] neg_hi:[0,1]
	v_mov_b32_e32 v3, v8
	v_sub_f32_e32 v4, v4, v10
	v_pk_add_f32 v[2:3], v[2:3], v[10:11] neg_lo:[0,1] neg_hi:[0,1]
	v_sub_f32_e32 v4, v12, v4
	v_add_f32_e32 v2, v2, v4
	v_add_f32_e32 v2, v2, v3
	;; [unrolled: 1-line block ×3, first 2 shown]
	v_sub_f32_e32 v4, v3, v6
	v_sub_f32_e32 v2, v2, v4
	v_mul_f32_e32 v4, v1, v3
	v_fma_f32 v3, v1, v3, -v4
	v_fmac_f32_e32 v3, v1, v2
	v_add_f32_e32 v2, v4, v3
	v_cmp_class_f32_e64 vcc, v4, s6
	v_sub_f32_e32 v5, v2, v4
	v_sub_f32_e32 v3, v3, v5
	v_cndmask_b32_e32 v2, v2, v4, vcc
	v_mov_b32_e32 v4, 0x37000000
	v_cmp_eq_f32_e32 vcc, s5, v2
	v_cmp_class_f32_e64 s[10:11], v18, s6
	s_nop 0
	v_cndmask_b32_e32 v4, 0, v4, vcc
	v_sub_f32_e32 v5, v2, v4
	v_mul_f32_e32 v6, 0x3fb8aa3b, v5
	v_fma_f32 v7, v5, s7, -v6
	v_rndne_f32_e32 v8, v6
	v_fmamk_f32 v7, v5, 0x32a5705f, v7
	v_sub_f32_e32 v6, v6, v8
	v_add_f32_e32 v6, v6, v7
	v_exp_f32_e32 v6, v6
	v_cvt_i32_f32_e32 v7, v8
	v_cmp_neq_f32_e64 vcc, |v2|, s4
	s_mov_b32 s4, 0xc2ce8ed0
	s_nop 0
	v_cndmask_b32_e32 v2, 0, v3, vcc
	v_ldexp_f32 v3, v6, v7
	v_cmp_ngt_f32_e32 vcc, s4, v5
	v_add_f32_e32 v2, v4, v2
	v_mov_b32_e32 v4, 0x7f800000
	v_cndmask_b32_e32 v3, 0, v3, vcc
	v_cmp_nlt_f32_e32 vcc, s5, v5
	v_mov_b32_e32 v5, 0x7fc00000
	s_nop 0
	v_cndmask_b32_e32 v3, v4, v3, vcc
	v_fma_f32 v2, v3, v2, v3
	v_cmp_class_f32_e64 vcc, v3, s6
	v_cmp_gt_f32_e64 s[6:7], 0, v1
	s_nop 0
	v_cndmask_b32_e32 v2, v2, v3, vcc
	v_trunc_f32_e32 v3, v1
	v_cmp_eq_f32_e32 vcc, v3, v1
	v_mul_f32_e32 v3, 0.5, v1
	v_trunc_f32_e32 v6, v3
	v_cmp_neq_f32_e64 s[4:5], v6, v3
	s_and_b64 s[4:5], vcc, s[4:5]
	s_nop 0
	v_cndmask_b32_e64 v3, 1.0, v18, s[4:5]
	v_bfi_b32 v2, s9, v2, v3
	v_cndmask_b32_e32 v3, v5, v2, vcc
	v_cmp_gt_f32_e32 vcc, 0, v18
	s_nop 1
	v_cndmask_b32_e32 v2, v2, v3, vcc
	v_cmp_eq_f32_e32 vcc, 0, v18
	s_xor_b64 s[6:7], s[6:7], vcc
	v_cndmask_b32_e64 v1, v4, 0, s[6:7]
	v_cndmask_b32_e64 v3, 0, v18, s[4:5]
	v_bfi_b32 v1, s9, v1, v3
	s_or_b64 vcc, vcc, s[10:11]
	v_cndmask_b32_e32 v1, v2, v1, vcc
	v_cmp_o_f32_e32 vcc, v18, v18
	s_nop 1
	v_cndmask_b32_e32 v74, v5, v1, vcc
.LBB27_2:
	s_load_dwordx16 s[16:31], s[0:1], 0x0
	v_bfe_u32 v70, v0, 10, 10
	v_and_b32_e32 v71, 0x3ff, v0
	s_mul_hi_u32 s50, s49, s14
	s_mul_hi_u32 s44, s43, s15
	v_cmp_eq_u32_e64 s[14:15], 0, v70
	v_lshlrev_b32_e32 v16, 4, v71
	v_mbcnt_lo_u32_b32 v72, -1, 0
	s_and_saveexec_b64 s[6:7], s[14:15]
	s_cbranch_execz .LBB27_11
; %bb.3:
	s_load_dwordx4 s[52:55], s[0:1], 0x70
	v_mbcnt_hi_u32_b32 v2, -1, v72
	v_and_b32_e32 v0, 0x60, v2
	v_xor_b32_e32 v1, 4, v2
	v_add_u32_e32 v8, 32, v0
	s_waitcnt lgkmcnt(0)
	s_mul_i32 s4, s33, s54
	s_mul_i32 s9, s52, s2
	;; [unrolled: 1-line block ×3, first 2 shown]
	s_add_i32 s4, s4, s9
	s_add_i32 s4, s4, s5
	s_ashr_i32 s5, s4, 31
	s_add_u32 s4, s16, s4
	s_addc_u32 s5, s17, s5
	global_load_dwordx4 v[10:13], v16, s[4:5]
	v_xor_b32_e32 v3, 2, v2
	v_cmp_lt_i32_e32 vcc, v1, v8
	v_xor_b32_e32 v6, 1, v2
	s_mov_b32 s16, 0x42fe0000
	v_cndmask_b32_e32 v0, v2, v1, vcc
	v_cmp_lt_i32_e32 vcc, v3, v8
	v_lshlrev_b32_e32 v5, 2, v0
	v_mov_b32_e32 v17, 0
	v_cndmask_b32_e32 v1, v2, v3, vcc
	v_lshlrev_b32_e32 v4, 2, v1
	v_cmp_lt_i32_e32 vcc, v6, v8
	s_mov_b32 s9, s8
	s_waitcnt vmcnt(0)
	v_mov_b32_e32 v0, v13
	v_mov_b32_e32 v1, v11
	v_mul_f32_e32 v9, s8, v10
	v_pk_mul_f32 v[0:1], s[36:37], v[0:1] op_sel_hi:[0,1]
	v_mul_f32_e32 v7, s8, v12
	v_max_f32_e64 v3, |v9|, |v1|
	v_max3_f32 v3, v3, |v7|, |v0|
	ds_bpermute_b32 v11, v5, v3
	v_fma_f32 v10, s8, v10, v1
	v_fmac_f32_e32 v10, s8, v12
	v_add_f32_e32 v10, v10, v0
	ds_bpermute_b32 v12, v5, v10
	s_waitcnt lgkmcnt(1)
	v_max_f32_e32 v11, v11, v11
	v_max_f32_e32 v3, v3, v11
	ds_bpermute_b32 v11, v4, v3
	v_cndmask_b32_e32 v2, v2, v6, vcc
	v_lshlrev_b32_e32 v6, 2, v2
	s_waitcnt lgkmcnt(1)
	v_add_f32_e32 v2, v10, v12
	ds_bpermute_b32 v8, v4, v2
	s_waitcnt lgkmcnt(1)
	v_max_f32_e32 v10, v11, v11
	v_max_f32_e32 v10, v3, v10
	ds_bpermute_b32 v11, v6, v10
	s_waitcnt lgkmcnt(1)
	v_add_f32_e32 v3, v2, v8
	ds_bpermute_b32 v8, v6, v3
	s_waitcnt lgkmcnt(1)
	v_max_f32_e32 v2, v11, v11
	v_max_f32_e32 v2, v10, v2
	v_div_scale_f32 v10, s[10:11], s16, s16, v2
	v_rcp_f32_e32 v11, v10
	v_div_scale_f32 v12, vcc, v2, s16, v2
	v_fma_f32 v13, -v10, v11, 1.0
	v_fmac_f32_e32 v11, v13, v11
	v_mul_f32_e32 v13, v12, v11
	v_fma_f32 v14, -v10, v13, v12
	v_fmac_f32_e32 v13, v14, v11
	v_fma_f32 v10, -v10, v13, v12
	v_div_fmas_f32 v10, v10, v11, v13
	v_div_fixup_f32 v2, v10, s16, v2
	v_cmp_neq_f32_e32 vcc, 0, v2
	v_mov_b32_e32 v10, v17
	s_and_saveexec_b64 s[10:11], vcc
	s_cbranch_execz .LBB27_5
; %bb.4:
	v_div_scale_f32 v10, s[16:17], v2, v2, v9
	v_rcp_f32_e32 v11, v10
	v_div_scale_f32 v12, vcc, v9, v2, v9
	s_brev_b32 s36, -2
	v_fma_f32 v13, -v10, v11, 1.0
	v_fmac_f32_e32 v11, v13, v11
	v_mul_f32_e32 v13, v12, v11
	v_fma_f32 v14, -v10, v13, v12
	v_fmac_f32_e32 v13, v14, v11
	v_fma_f32 v10, -v10, v13, v12
	v_div_fmas_f32 v10, v10, v11, v13
	v_div_fixup_f32 v9, v10, v2, v9
	v_trunc_f32_e32 v10, v9
	v_sub_f32_e32 v11, v9, v10
	v_cmp_ge_f32_e64 s[16:17], |v11|, 0.5
	s_nop 1
	v_cndmask_b32_e64 v11, 0, 1.0, s[16:17]
	v_div_scale_f32 v12, s[16:17], v2, v2, v0
	v_rcp_f32_e32 v13, v12
	v_bfi_b32 v9, s36, v11, v9
	v_add_f32_e32 v9, v10, v9
	v_cvt_i32_f32_e32 v9, v9
	v_fma_f32 v10, -v12, v13, 1.0
	v_fmac_f32_e32 v13, v10, v13
	v_div_scale_f32 v10, vcc, v0, v2, v0
	v_mul_f32_e32 v11, v10, v13
	v_fma_f32 v14, -v12, v11, v10
	v_fmac_f32_e32 v11, v14, v13
	v_div_scale_f32 v14, s[16:17], v2, v2, v1
	v_rcp_f32_e32 v15, v14
	v_fma_f32 v10, -v12, v11, v10
	v_div_fmas_f32 v10, v10, v13, v11
	v_div_fixup_f32 v0, v10, v2, v0
	v_fma_f32 v11, -v14, v15, 1.0
	v_fmac_f32_e32 v15, v11, v15
	v_div_scale_f32 v11, vcc, v1, v2, v1
	v_mul_f32_e32 v12, v11, v15
	v_fma_f32 v13, -v14, v12, v11
	v_fmac_f32_e32 v12, v13, v15
	v_div_scale_f32 v13, s[16:17], v2, v2, v7
	v_rcp_f32_e32 v18, v13
	v_fma_f32 v11, -v14, v12, v11
	v_div_fmas_f32 v11, v11, v15, v12
	v_div_fixup_f32 v1, v11, v2, v1
	v_fma_f32 v12, -v13, v18, 1.0
	v_fmac_f32_e32 v18, v12, v18
	v_div_scale_f32 v12, vcc, v7, v2, v7
	v_mul_f32_e32 v14, v12, v18
	v_fma_f32 v15, -v13, v14, v12
	v_fmac_f32_e32 v14, v15, v18
	v_fma_f32 v12, -v13, v14, v12
	v_div_fmas_f32 v12, v12, v18, v14
	v_div_fixup_f32 v7, v12, v2, v7
	v_trunc_f32_e32 v12, v7
	v_sub_f32_e32 v13, v7, v12
	v_trunc_f32_e32 v10, v1
	v_cmp_ge_f32_e64 s[16:17], |v13|, 0.5
	v_sub_f32_e32 v11, v1, v10
	s_nop 0
	v_cndmask_b32_e64 v13, 0, 1.0, s[16:17]
	v_cmp_ge_f32_e64 s[16:17], |v11|, 0.5
	v_bfi_b32 v7, s36, v13, v7
	v_add_f32_e32 v7, v12, v7
	v_cndmask_b32_e64 v11, 0, 1.0, s[16:17]
	v_bfi_b32 v1, s36, v11, v1
	v_add_f32_e32 v1, v10, v1
	v_trunc_f32_e32 v10, v0
	v_sub_f32_e32 v11, v0, v10
	v_cmp_ge_f32_e64 s[16:17], |v11|, 0.5
	v_cvt_i32_f32_e32 v7, v7
	v_cvt_i32_f32_e32 v1, v1
	v_cndmask_b32_e64 v11, 0, 1.0, s[16:17]
	v_bfi_b32 v0, s36, v11, v0
	v_add_f32_e32 v0, v10, v0
	v_cvt_i32_f32_e32 v0, v0
	v_and_b32_e32 v7, 0xff, v7
	v_lshlrev_b32_e32 v7, 16, v7
	v_mov_b32_e32 v10, 8
	v_lshlrev_b32_sdwa v1, v10, v1 dst_sel:DWORD dst_unused:UNUSED_PAD src0_sel:DWORD src1_sel:BYTE_0
	v_lshl_or_b32 v0, v0, 24, v7
	v_and_b32_e32 v7, 0xff, v9
	v_or3_b32 v10, v0, v1, v7
.LBB27_5:
	s_or_b64 exec, exec, s[10:11]
	v_and_b32_e32 v9, 7, v71
	v_lshl_add_u64 v[0:1], s[4:5], 0, v[16:17]
	v_lshlrev_b32_e32 v7, 2, v71
	v_cmp_eq_u32_e64 s[4:5], 0, v9
	ds_write_b32 v7, v10
	s_and_saveexec_b64 s[10:11], s[4:5]
	s_cbranch_execz .LBB27_7
; %bb.6:
	s_waitcnt lgkmcnt(1)
	v_add_f32_e32 v3, v3, v8
	ds_write_b64 v71, v[2:3] offset:256
.LBB27_7:
	s_or_b64 exec, exec, s[10:11]
	global_load_dwordx4 v[10:13], v[0:1], off offset:512
	s_mov_b32 s10, 0x42fe0000
	s_waitcnt vmcnt(0)
	v_mov_b32_e32 v0, v13
	v_mov_b32_e32 v1, v11
	v_mul_f32_e32 v9, s8, v10
	v_pk_mul_f32 v[0:1], s[8:9], v[0:1]
	s_waitcnt lgkmcnt(1)
	v_mul_f32_e32 v8, s8, v12
	v_max_f32_e64 v2, |v9|, |v1|
	v_max3_f32 v2, v2, |v8|, |v0|
	ds_bpermute_b32 v3, v5, v2
	v_fma_f32 v10, s8, v10, v1
	v_fmac_f32_e32 v10, s8, v12
	v_add_f32_e32 v10, v10, v0
	ds_bpermute_b32 v5, v5, v10
	s_waitcnt lgkmcnt(1)
	v_max_f32_e32 v3, v3, v3
	v_max_f32_e32 v2, v2, v3
	ds_bpermute_b32 v3, v4, v2
	s_waitcnt lgkmcnt(1)
	v_add_f32_e32 v5, v10, v5
	ds_bpermute_b32 v4, v4, v5
	s_waitcnt lgkmcnt(1)
	v_max_f32_e32 v3, v3, v3
	v_max_f32_e32 v2, v2, v3
	ds_bpermute_b32 v10, v6, v2
	s_waitcnt lgkmcnt(1)
	v_add_f32_e32 v3, v5, v4
	s_waitcnt lgkmcnt(0)
	v_max_f32_e32 v4, v10, v10
	v_max_f32_e32 v2, v2, v4
	v_div_scale_f32 v5, s[8:9], s10, s10, v2
	v_rcp_f32_e32 v10, v5
	ds_bpermute_b32 v4, v6, v3
	v_div_scale_f32 v6, vcc, v2, s10, v2
	v_fma_f32 v11, -v5, v10, 1.0
	v_fmac_f32_e32 v10, v11, v10
	v_mul_f32_e32 v11, v6, v10
	v_fma_f32 v12, -v5, v11, v6
	v_fmac_f32_e32 v11, v12, v10
	v_fma_f32 v5, -v5, v11, v6
	v_div_fmas_f32 v5, v5, v10, v11
	v_div_fixup_f32 v2, v5, s10, v2
	v_cmp_neq_f32_e32 vcc, 0, v2
	v_mov_b32_e32 v5, 0
	s_and_saveexec_b64 s[8:9], vcc
	s_cbranch_execz .LBB27_9
; %bb.8:
	v_div_scale_f32 v5, s[10:11], v2, v2, v9
	v_rcp_f32_e32 v6, v5
	v_div_scale_f32 v10, vcc, v9, v2, v9
	s_brev_b32 s16, -2
	v_fma_f32 v11, -v5, v6, 1.0
	v_fmac_f32_e32 v6, v11, v6
	v_mul_f32_e32 v11, v10, v6
	v_fma_f32 v12, -v5, v11, v10
	v_fmac_f32_e32 v11, v12, v6
	v_fma_f32 v5, -v5, v11, v10
	v_div_fmas_f32 v5, v5, v6, v11
	v_div_fixup_f32 v5, v5, v2, v9
	v_trunc_f32_e32 v6, v5
	v_sub_f32_e32 v9, v5, v6
	v_cmp_ge_f32_e64 s[10:11], |v9|, 0.5
	s_nop 1
	v_cndmask_b32_e64 v9, 0, 1.0, s[10:11]
	v_div_scale_f32 v10, s[10:11], v2, v2, v0
	v_rcp_f32_e32 v11, v10
	v_bfi_b32 v5, s16, v9, v5
	v_add_f32_e32 v5, v6, v5
	v_cvt_i32_f32_e32 v5, v5
	v_fma_f32 v6, -v10, v11, 1.0
	v_fmac_f32_e32 v11, v6, v11
	v_div_scale_f32 v6, vcc, v0, v2, v0
	v_mul_f32_e32 v9, v6, v11
	v_fma_f32 v12, -v10, v9, v6
	v_fmac_f32_e32 v9, v12, v11
	v_div_scale_f32 v12, s[10:11], v2, v2, v1
	v_rcp_f32_e32 v13, v12
	v_fma_f32 v6, -v10, v9, v6
	v_div_fmas_f32 v6, v6, v11, v9
	v_div_fixup_f32 v0, v6, v2, v0
	v_fma_f32 v9, -v12, v13, 1.0
	v_fmac_f32_e32 v13, v9, v13
	v_div_scale_f32 v9, vcc, v1, v2, v1
	v_mul_f32_e32 v10, v9, v13
	v_fma_f32 v11, -v12, v10, v9
	v_fmac_f32_e32 v10, v11, v13
	v_div_scale_f32 v11, s[10:11], v2, v2, v8
	v_rcp_f32_e32 v14, v11
	v_fma_f32 v9, -v12, v10, v9
	v_div_fmas_f32 v9, v9, v13, v10
	v_div_fixup_f32 v1, v9, v2, v1
	v_fma_f32 v10, -v11, v14, 1.0
	v_fmac_f32_e32 v14, v10, v14
	v_div_scale_f32 v10, vcc, v8, v2, v8
	v_mul_f32_e32 v12, v10, v14
	v_fma_f32 v13, -v11, v12, v10
	v_fmac_f32_e32 v12, v13, v14
	v_fma_f32 v10, -v11, v12, v10
	v_div_fmas_f32 v10, v10, v14, v12
	v_div_fixup_f32 v8, v10, v2, v8
	v_trunc_f32_e32 v10, v8
	v_sub_f32_e32 v11, v8, v10
	v_cmp_ge_f32_e64 s[10:11], |v11|, 0.5
	v_and_b32_e32 v5, 0xff, v5
	s_nop 0
	v_cndmask_b32_e64 v11, 0, 1.0, s[10:11]
	v_bfi_b32 v8, s16, v11, v8
	v_add_f32_e32 v8, v10, v8
	v_cvt_i32_f32_e32 v8, v8
	v_and_b32_e32 v6, 0xff, v8
	v_trunc_f32_e32 v8, v1
	v_sub_f32_e32 v9, v1, v8
	v_cmp_ge_f32_e64 s[10:11], |v9|, 0.5
	v_lshlrev_b32_e32 v6, 16, v6
	s_nop 0
	v_cndmask_b32_e64 v9, 0, 1.0, s[10:11]
	v_bfi_b32 v1, s16, v9, v1
	v_add_f32_e32 v1, v8, v1
	v_trunc_f32_e32 v8, v0
	v_sub_f32_e32 v9, v0, v8
	v_cmp_ge_f32_e64 s[10:11], |v9|, 0.5
	v_cvt_i32_f32_e32 v1, v1
	s_nop 0
	v_cndmask_b32_e64 v9, 0, 1.0, s[10:11]
	v_bfi_b32 v0, s16, v9, v0
	v_add_f32_e32 v0, v8, v0
	v_cvt_i32_f32_e32 v0, v0
	v_mov_b32_e32 v8, 8
	v_lshlrev_b32_sdwa v1, v8, v1 dst_sel:DWORD dst_unused:UNUSED_PAD src0_sel:DWORD src1_sel:BYTE_0
	v_lshl_or_b32 v0, v0, 24, v6
	v_or3_b32 v5, v0, v1, v5
.LBB27_9:
	s_or_b64 exec, exec, s[8:9]
	ds_write_b32 v7, v5 offset:128
	s_and_b64 exec, exec, s[4:5]
	s_cbranch_execz .LBB27_11
; %bb.10:
	s_waitcnt lgkmcnt(1)
	v_add_f32_e32 v3, v3, v4
	ds_write_b64 v71, v[2:3] offset:288
.LBB27_11:
	s_or_b64 exec, exec, s[6:7]
	v_and_b32_e32 v36, 3, v71
	v_lshlrev_b32_e32 v17, 2, v36
	v_mov_b32_e32 v76, 0
	s_waitcnt lgkmcnt(0)
	s_barrier
	ds_read2_b32 v[18:19], v17 offset1:4
	ds_read2_b32 v[20:21], v17 offset0:8 offset1:12
	ds_read_b128 v[0:3], v76 offset:256
	ds_read_b128 v[4:7], v76 offset:272
	;; [unrolled: 1-line block ×4, first 2 shown]
	ds_read2_b32 v[22:23], v17 offset0:16 offset1:20
	ds_read2_b32 v[24:25], v17 offset0:24 offset1:28
	;; [unrolled: 1-line block ×6, first 2 shown]
	s_ashr_i32 s41, s40, 31
	s_ashr_i32 s6, s38, 31
	;; [unrolled: 1-line block ×3, first 2 shown]
	s_cmp_eq_u64 s[26:27], 0
	s_waitcnt lgkmcnt(0)
	s_barrier
	s_cbranch_scc1 .LBB27_13
; %bb.12:
	s_load_dword s4, s[0:1], 0xd0
	s_mov_b32 s5, 0
	s_waitcnt lgkmcnt(0)
	s_mul_i32 s4, s4, s33
	s_add_i32 s4, s4, s2
	s_lshl_b64 s[4:5], s[4:5], 2
	s_add_u32 s4, s26, s4
	s_addc_u32 s5, s27, s5
	s_load_dword s42, s[4:5], 0x0
.LBB27_13:
	v_lshlrev_b32_e32 v48, 5, v70
	v_add_u32_e32 v17, v48, v71
	s_lshl_b32 s16, s3, 7
	s_mov_b32 s27, 0
	s_waitcnt lgkmcnt(0)
	s_cmp_ge_i32 s16, s42
	v_lshlrev_b32_e32 v75, 2, v71
	v_lshlrev_b32_e32 v73, 1, v17
	s_cbranch_scc1 .LBB27_41
; %bb.14:
	s_load_dwordx4 s[36:39], s[0:1], 0x98
	s_load_dwordx2 s[46:47], s[0:1], 0x8c
	s_load_dwordx2 s[4:5], s[0:1], 0xa8
	s_xor_b32 s6, s41, s6
	s_add_i32 s11, s50, 1
	s_waitcnt lgkmcnt(0)
	s_mul_hi_u32 s7, s36, s33
	s_mul_i32 s9, s36, s8
	s_mul_i32 s10, s37, s33
	s_add_i32 s7, s7, s9
	s_add_i32 s7, s7, s10
	s_mul_i32 s10, s50, s48
	s_sub_i32 s10, s49, s10
	s_sub_i32 s17, s10, s48
	s_cmp_ge_u32 s10, s48
	s_cselect_b32 s11, s11, s50
	s_cselect_b32 s10, s17, s10
	s_add_i32 s17, s11, 1
	s_cmp_ge_u32 s10, s48
	s_cselect_b32 s10, s17, s11
	s_xor_b32 s10, s10, s6
	s_sub_i32 s10, s10, s6
	s_mul_i32 s6, s10, s47
	s_mul_i32 s9, s36, s33
	s_ashr_i32 s11, s6, 31
	s_add_u32 s9, s18, s9
	s_addc_u32 s7, s19, s7
	s_add_u32 s9, s9, s6
	s_mul_hi_u32 s17, s4, s33
	s_mul_i32 s18, s4, s8
	s_addc_u32 s11, s7, s11
	s_add_i32 s17, s17, s18
	s_mul_i32 s5, s5, s33
	s_mul_i32 s10, s10, s39
	s_add_i32 s17, s17, s5
	s_mul_i32 s4, s4, s33
	s_ashr_i32 s5, s10, 31
	s_add_u32 s4, s20, s4
	s_addc_u32 s17, s21, s17
	s_add_u32 s10, s4, s10
	s_mul_i32 s44, s44, s12
	s_addc_u32 s21, s17, s5
	s_sub_i32 s4, s43, s44
	s_sub_i32 s5, s4, s12
	s_cmp_ge_u32 s4, s12
	s_cselect_b32 s4, s5, s4
	s_sub_i32 s5, s4, s12
	s_cmp_ge_u32 s4, s12
	s_load_dwordx2 s[6:7], s[0:1], 0xc8
	s_load_dword s26, s[0:1], 0xd4
	s_cselect_b32 s4, s5, s4
	s_xor_b32 s4, s4, s8
	s_sub_i32 s4, s4, s8
	s_ashr_i32 s5, s4, 31
	s_waitcnt lgkmcnt(0)
	s_mul_i32 s5, s6, s5
	s_mul_hi_u32 s8, s6, s4
	s_add_i32 s5, s8, s5
	s_mul_i32 s7, s7, s4
	s_add_i32 s5, s5, s7
	s_mul_i32 s4, s6, s4
	s_add_u32 s4, s22, s4
	s_mul_i32 s6, s13, s2
	v_mbcnt_hi_u32_b32 v46, -1, v72
	s_addc_u32 s5, s23, s5
	s_ashr_i32 s7, s6, 31
	v_and_b32_e32 v38, 0x7c, v46
	s_add_u32 s6, s4, s6
	s_mov_b32 s17, s27
	v_add_u32_e32 v38, 4, v38
	v_xor_b32_e32 v39, 2, v46
	s_addc_u32 s7, s5, s7
	s_lshl_b64 s[4:5], s[16:17], 1
	v_cmp_lt_i32_e32 vcc, v39, v38
	s_add_u32 s18, s6, s4
	s_addc_u32 s19, s7, s5
	v_cndmask_b32_e32 v39, v46, v39, vcc
	s_mul_i32 s4, s38, s16
	v_lshlrev_b32_e32 v77, 2, v39
	v_xor_b32_e32 v39, 1, v46
	s_add_u32 s20, s10, s4
	v_cmp_lt_i32_e32 vcc, v39, v38
	s_addc_u32 s21, s21, 0
	s_mul_i32 s4, s46, s16
	v_cndmask_b32_e32 v38, v46, v39, vcc
	s_add_u32 s36, s9, s4
	v_lshlrev_b32_e32 v78, 2, v38
	v_and_b32_e32 v38, 0x60, v46
	s_addc_u32 s37, s11, 0
	v_add_u32_e32 v47, 32, v38
	v_cmp_eq_u32_e64 s[4:5], 3, v36
	v_cmp_eq_u32_e64 s[6:7], 0, v36
	;; [unrolled: 1-line block ×4, first 2 shown]
	v_xor_b32_e32 v36, 4, v46
	v_cmp_lt_i32_e32 vcc, v36, v47
	v_lshrrev_b32_e32 v49, 3, v71
	v_and_b32_e32 v34, 0x7c, v71
	v_cndmask_b32_e32 v36, v46, v36, vcc
	v_lshlrev_b32_e32 v79, 2, v36
	v_xor_b32_e32 v36, 8, v46
	v_cmp_lt_i32_e32 vcc, v36, v47
	v_add_u32_e32 v62, v48, v34
	v_lshlrev_b32_e32 v38, 3, v71
	v_cndmask_b32_e32 v36, v46, v36, vcc
	v_lshlrev_b32_e32 v80, 2, v36
	v_xor_b32_e32 v36, 16, v46
	v_cmp_lt_i32_e32 vcc, v36, v47
	v_add_u32_e32 v60, v48, v49
	v_and_b32_e32 v64, 56, v38
	v_cndmask_b32_e32 v36, v46, v36, vcc
	v_lshlrev_b32_e32 v81, 2, v36
	v_or_b32_e32 v36, v48, v49
	v_lshlrev_b32_e32 v82, 1, v36
	v_mul_lo_u32 v46, v36, s38
	v_or_b32_e32 v36, 16, v36
	v_mul_lo_u32 v38, v62, s46
	v_mul_lo_u32 v54, v36, s38
	v_add_u32_e32 v36, 20, v60
	v_add_u32_e32 v40, s46, v38
	v_mul_lo_u32 v56, v36, s38
	v_add_u32_e32 v36, 24, v60
	s_cmp_lg_u64 s[22:23], 0
	v_add_u32_e32 v42, s46, v40
	v_add_u32_e32 v48, 4, v60
	;; [unrolled: 1-line block ×4, first 2 shown]
	v_mul_lo_u32 v58, v36, s38
	v_add_u32_e32 v36, 28, v60
	v_mov_b32_e32 v37, 0
	s_cselect_b64 s[22:23], -1, 0
	s_lshl_b32 s26, s26, 7
	v_add_u32_e32 v44, s46, v42
	v_lshlrev_b32_e32 v83, 1, v60
	v_mul_lo_u32 v48, v48, s38
	v_mul_lo_u32 v50, v50, s38
	v_mul_lo_u32 v52, v52, s38
	v_mul_lo_u32 v60, v36, s38
                                        ; implicit-def: $vgpr36
                                        ; implicit-def: $vgpr36
	;; [unrolled: 1-line block ×3, first 2 shown]
	v_and_b32_e32 v34, 12, v75
	v_mov_b32_e32 v35, v37
	s_mul_i32 s17, s26, s46
	s_mul_i32 s43, s26, s38
	v_ashrrev_i32_e32 v39, 31, v38
	v_ashrrev_i32_e32 v41, 31, v40
	;; [unrolled: 1-line block ×12, first 2 shown]
	v_mov_b32_e32 v102, 0xfeffffff
	s_mov_b32 s44, 0x3f200000
	s_mov_b32 s46, 0x3fb8aa3b
	s_mov_b32 s47, 0xc2ce8ed0
	s_mov_b32 s48, 0x42b17218
	v_mov_b32_e32 v84, 0x3ca908c9
	v_lshlrev_b32_e32 v36, 1, v62
	s_brev_b32 s49, -2
	v_lshlrev_b32_e32 v62, 1, v64
	v_mov_b32_e32 v85, 0x7f800000
	v_mov_b32_e32 v98, v37
	;; [unrolled: 1-line block ×18, first 2 shown]
                                        ; implicit-def: $vgpr86
.LBB27_15:                              ; =>This Inner Loop Header: Depth=1
	v_lshl_add_u64 v[64:65], s[36:37], 0, v[38:39]
	v_lshl_add_u64 v[66:67], v[64:65], 0, v[34:35]
	global_load_dword v68, v[66:67], off offset:4
	v_mov_b32_e32 v103, 0
	v_mov_b32_e32 v105, 0
	s_waitcnt vmcnt(0)
	v_and_b32_e32 v69, 0xf0f0f0f, v68
	v_dot4c_i32_i8_e32 v103, v69, v18
	global_load_dword v69, v[64:65], off
	v_lshrrev_b32_e32 v68, 4, v68
	v_and_b32_e32 v68, 0xf0f0f0f, v68
	v_cvt_f32_i32_e32 v103, v103
	v_dot4c_i32_i8_e32 v105, v68, v19
	s_waitcnt vmcnt(0)
	v_cvt_f32_f16_e32 v104, v69
	v_cvt_f32_f16_sdwa v69, v69 dst_sel:DWORD dst_unused:UNUSED_PAD src0_sel:WORD_1
	v_cvt_f32_i32_e32 v68, v105
	v_mul_f32_e32 v104, v0, v104
	v_mul_f32_e32 v69, v1, v69
	;; [unrolled: 1-line block ×3, first 2 shown]
	v_fma_f32 v103, v104, v103, v69
	v_add_f32_e32 v103, 0, v103
	v_fmac_f32_e32 v69, v104, v68
	v_add_f32_e32 v68, v69, v103
	global_load_dword v69, v[66:67], off offset:24
	v_mov_b32_e32 v104, 0
	s_waitcnt vmcnt(0)
	v_and_b32_e32 v103, 0xf0f0f0f, v69
	v_dot4c_i32_i8_e32 v104, v103, v20
	global_load_dword v103, v[64:65], off offset:20
	v_lshrrev_b32_e32 v69, 4, v69
	v_and_b32_e32 v69, 0xf0f0f0f, v69
	v_cvt_f32_i32_e32 v104, v104
	s_waitcnt vmcnt(0)
	v_cvt_f32_f16_e32 v105, v103
	v_cvt_f32_f16_sdwa v103, v103 dst_sel:DWORD dst_unused:UNUSED_PAD src0_sel:WORD_1
	v_mul_f32_e32 v105, v2, v105
	v_mul_f32_e32 v103, v3, v103
	;; [unrolled: 1-line block ×3, first 2 shown]
	v_fma_f32 v104, v105, v104, v103
	v_add_f32_e32 v68, v68, v104
	v_mov_b32_e32 v104, 0
	v_dot4c_i32_i8_e32 v104, v69, v21
	s_nop 2
	v_cvt_f32_i32_e32 v69, v104
	v_mov_b32_e32 v104, 0
	v_fmac_f32_e32 v103, v105, v69
	global_load_dword v69, v[66:67], off offset:44
	v_add_f32_e32 v68, v103, v68
	s_waitcnt vmcnt(0)
	v_and_b32_e32 v103, 0xf0f0f0f, v69
	v_dot4c_i32_i8_e32 v104, v103, v22
	global_load_dword v103, v[64:65], off offset:40
	v_lshrrev_b32_e32 v69, 4, v69
	v_and_b32_e32 v69, 0xf0f0f0f, v69
	v_cvt_f32_i32_e32 v104, v104
	s_waitcnt vmcnt(0)
	v_cvt_f32_f16_e32 v105, v103
	v_cvt_f32_f16_sdwa v103, v103 dst_sel:DWORD dst_unused:UNUSED_PAD src0_sel:WORD_1
	v_mul_f32_e32 v105, v4, v105
	v_mul_f32_e32 v103, v5, v103
	;; [unrolled: 1-line block ×3, first 2 shown]
	v_fma_f32 v104, v105, v104, v103
	v_add_f32_e32 v68, v68, v104
	v_mov_b32_e32 v104, 0
	v_dot4c_i32_i8_e32 v104, v69, v23
	s_nop 2
	v_cvt_f32_i32_e32 v69, v104
	v_fmac_f32_e32 v103, v105, v69
	global_load_dword v69, v[66:67], off offset:64
	v_add_f32_e32 v103, v103, v68
	v_mov_b32_e32 v105, 0
	s_waitcnt vmcnt(0)
	v_and_b32_e32 v68, 0xf0f0f0f, v69
	v_dot4c_i32_i8_e32 v105, v68, v24
	global_load_dword v68, v[64:65], off offset:60
	v_lshrrev_b32_e32 v69, 4, v69
	v_and_b32_e32 v69, 0xf0f0f0f, v69
	v_cvt_f32_i32_e32 v107, v105
	s_waitcnt vmcnt(0)
	v_cvt_f32_f16_e32 v104, v68
	v_cvt_f32_f16_sdwa v106, v68 dst_sel:DWORD dst_unused:UNUSED_PAD src0_sel:WORD_1
	v_mul_f32_e32 v68, v6, v104
	v_mul_f32_e32 v104, v7, v106
	v_mov_b32_e32 v106, 0
	v_dot4c_i32_i8_e32 v106, v69, v25
	v_mul_f32_e32 v104, 0x3e000000, v104
	s_nop 1
	v_cvt_f32_i32_e32 v106, v106
	v_pk_fma_f32 v[68:69], v[68:69], v[106:107], v[104:105] op_sel_hi:[0,1,0]
	v_add_f32_e32 v69, v103, v69
	v_add_f32_e32 v103, v68, v69
	global_load_dword v69, v[66:67], off offset:84
	v_mov_b32_e32 v105, 0
	s_waitcnt vmcnt(0)
	v_and_b32_e32 v68, 0xf0f0f0f, v69
	v_dot4c_i32_i8_e32 v105, v68, v26
	global_load_dword v68, v[64:65], off offset:80
	v_lshrrev_b32_e32 v69, 4, v69
	v_and_b32_e32 v69, 0xf0f0f0f, v69
	v_cvt_f32_i32_e32 v107, v105
	s_waitcnt vmcnt(0)
	v_cvt_f32_f16_e32 v104, v68
	v_cvt_f32_f16_sdwa v106, v68 dst_sel:DWORD dst_unused:UNUSED_PAD src0_sel:WORD_1
	v_mul_f32_e32 v68, v8, v104
	v_mul_f32_e32 v104, v9, v106
	v_mov_b32_e32 v106, 0
	v_dot4c_i32_i8_e32 v106, v69, v27
	v_mul_f32_e32 v104, 0x3e000000, v104
	s_nop 1
	v_cvt_f32_i32_e32 v106, v106
	v_pk_fma_f32 v[68:69], v[68:69], v[106:107], v[104:105] op_sel_hi:[0,1,0]
	v_add_f32_e32 v69, v103, v69
	v_add_f32_e32 v103, v68, v69
	global_load_dword v69, v[66:67], off offset:104
	;; [unrolled: 22-line block ×3, first 2 shown]
	v_mov_b32_e32 v105, 0
	global_load_dword v67, v[66:67], off offset:144
	s_waitcnt vmcnt(1)
	v_and_b32_e32 v68, 0xf0f0f0f, v69
	v_dot4c_i32_i8_e32 v105, v68, v30
	global_load_dword v68, v[64:65], off offset:120
	v_lshrrev_b32_e32 v69, 4, v69
	global_load_dword v64, v[64:65], off offset:140
	v_and_b32_e32 v69, 0xf0f0f0f, v69
	v_cvt_f32_i32_e32 v107, v105
	s_waitcnt vmcnt(2)
	v_and_b32_e32 v66, 0xf0f0f0f, v67
	s_waitcnt vmcnt(1)
	v_cvt_f32_f16_e32 v104, v68
	v_cvt_f32_f16_sdwa v106, v68 dst_sel:DWORD dst_unused:UNUSED_PAD src0_sel:WORD_1
	s_waitcnt vmcnt(0)
	v_cvt_f32_f16_e32 v65, v64
	v_mul_f32_e32 v68, v12, v104
	v_mul_f32_e32 v104, v13, v106
	v_mov_b32_e32 v106, 0
	v_dot4c_i32_i8_e32 v106, v69, v31
	v_mul_f32_e32 v104, 0x3e000000, v104
	s_nop 1
	v_cvt_f32_i32_e32 v106, v106
	v_pk_fma_f32 v[68:69], v[68:69], v[106:107], v[104:105] op_sel_hi:[0,1,0]
	v_add_f32_e32 v69, v103, v69
	v_add_f32_e32 v103, v68, v69
	v_mov_b32_e32 v68, 0
	v_dot4c_i32_i8_e32 v68, v66, v32
	v_cvt_f32_f16_sdwa v66, v64 dst_sel:DWORD dst_unused:UNUSED_PAD src0_sel:WORD_1
	v_mul_f32_e32 v64, v14, v65
	v_mul_f32_e32 v65, v15, v66
	;; [unrolled: 1-line block ×3, first 2 shown]
	v_lshrrev_b32_e32 v65, 4, v67
	v_and_b32_e32 v65, 0xf0f0f0f, v65
	v_mov_b32_e32 v67, 0
	v_dot4c_i32_i8_e32 v67, v65, v33
	v_cvt_f32_i32_e32 v69, v68
	s_nop 1
	v_cvt_f32_i32_e32 v68, v67
	v_pk_fma_f32 v[64:65], v[64:65], v[68:69], v[66:67] op_sel_hi:[0,1,0]
	v_add_f32_e32 v65, v103, v65
	v_add_f32_e32 v64, v64, v65
	ds_bpermute_b32 v65, v77, v64
                                        ; implicit-def: $vgpr67
	s_waitcnt lgkmcnt(0)
	v_add_f32_e32 v64, v64, v65
	ds_bpermute_b32 v65, v78, v64
	s_waitcnt lgkmcnt(0)
	v_add_f32_e32 v66, v64, v65
	v_cmp_nlt_f32_e64 s[12:13], |v66|, s44
	s_and_saveexec_b64 s[38:39], s[12:13]
	s_xor_b64 s[12:13], exec, s[38:39]
	s_cbranch_execz .LBB27_17
; %bb.16:                               ;   in Loop: Header=BB27_15 Depth=1
	v_add_f32_e64 v64, |v66|, |v66|
	v_mul_f32_e32 v65, 0x3fb8aa3b, v64
	v_rndne_f32_e32 v67, v65
	v_sub_f32_e32 v68, v65, v67
	v_fma_f32 v65, v64, s46, -v65
	v_fmac_f32_e32 v65, 0x32a5705f, v64
	v_add_f32_e32 v65, v68, v65
	v_cvt_i32_f32_e32 v67, v67
	v_exp_f32_e32 v65, v65
	v_cmp_ngt_f32_e32 vcc, s47, v64
	v_ldexp_f32 v65, v65, v67
	s_nop 0
	v_cndmask_b32_e32 v65, 0, v65, vcc
	v_cmp_nlt_f32_e32 vcc, s48, v64
	s_nop 1
	v_cndmask_b32_e32 v64, v85, v65, vcc
	v_add_f32_e32 v64, 1.0, v64
	v_rcp_f32_e32 v64, v64
	s_nop 0
	v_fma_f32 v67, v64, -2.0, 1.0
.LBB27_17:                              ;   in Loop: Header=BB27_15 Depth=1
	s_andn2_saveexec_b64 s[12:13], s[12:13]
; %bb.18:                               ;   in Loop: Header=BB27_15 Depth=1
	v_mul_f32_e32 v64, v66, v66
	v_fmamk_f32 v65, v64, 0xbbbac73d, v84
	v_fmaak_f32 v65, v64, v65, 0xbd5c1c4e
	v_fmaak_f32 v65, v64, v65, 0x3e088382
	;; [unrolled: 1-line block ×3, first 2 shown]
	v_mul_f32_e64 v65, |v66|, v65
	v_fma_f32 v67, v64, v65, |v66|
; %bb.19:                               ;   in Loop: Header=BB27_15 Depth=1
	s_or_b64 exec, exec, s[12:13]
	v_bfi_b32 v66, s49, v67, v66
	v_cndmask_b32_e64 v67, 0, 1, s[22:23]
	v_lshl_add_u64 v[64:65], s[18:19], 0, v[36:37]
	v_cmp_ne_u32_e64 s[12:13], 1, v67
	s_andn2_b64 vcc, exec, s[22:23]
	v_mul_f32_e32 v103, s45, v66
	s_cbranch_vccnz .LBB27_21
; %bb.20:                               ;   in Loop: Header=BB27_15 Depth=1
	global_load_ushort v66, v[64:65], off
	s_waitcnt vmcnt(0)
	v_fma_mix_f32 v103, v74, v66, v103 op_sel_hi:[0,1,0]
.LBB27_21:                              ;   in Loop: Header=BB27_15 Depth=1
	v_lshl_add_u64 v[66:67], s[36:37], 0, v[40:41]
	v_lshl_add_u64 v[68:69], v[66:67], 0, v[34:35]
	global_load_dword v104, v[68:69], off offset:4
	v_mov_b32_e32 v106, v37
	v_mov_b32_e32 v108, v37
	;; [unrolled: 1-line block ×3, first 2 shown]
	s_waitcnt vmcnt(0)
	v_and_b32_e32 v105, 0xf0f0f0f, v104
	v_dot4c_i32_i8_e32 v106, v105, v18
	global_load_dword v105, v[66:67], off
	v_lshrrev_b32_e32 v104, 4, v104
	v_and_b32_e32 v104, 0xf0f0f0f, v104
	v_cvt_f32_i32_e32 v106, v106
	v_dot4c_i32_i8_e32 v108, v104, v19
	s_waitcnt vmcnt(0)
	v_cvt_f32_f16_e32 v107, v105
	v_cvt_f32_f16_sdwa v105, v105 dst_sel:DWORD dst_unused:UNUSED_PAD src0_sel:WORD_1
	v_cvt_f32_i32_e32 v104, v108
	v_mul_f32_e32 v107, v0, v107
	v_mul_f32_e32 v105, v1, v105
	;; [unrolled: 1-line block ×3, first 2 shown]
	v_fma_f32 v106, v107, v106, v105
	v_add_f32_e32 v106, 0, v106
	v_fmac_f32_e32 v105, v107, v104
	v_add_f32_e32 v104, v105, v106
	global_load_dword v105, v[68:69], off offset:24
	v_mov_b32_e32 v107, v37
	s_waitcnt vmcnt(0)
	v_and_b32_e32 v106, 0xf0f0f0f, v105
	v_dot4c_i32_i8_e32 v107, v106, v20
	global_load_dword v106, v[66:67], off offset:20
	v_lshrrev_b32_e32 v105, 4, v105
	v_and_b32_e32 v105, 0xf0f0f0f, v105
	v_cvt_f32_i32_e32 v107, v107
	s_waitcnt vmcnt(0)
	v_cvt_f32_f16_e32 v108, v106
	v_cvt_f32_f16_sdwa v106, v106 dst_sel:DWORD dst_unused:UNUSED_PAD src0_sel:WORD_1
	v_mul_f32_e32 v108, v2, v108
	v_mul_f32_e32 v106, v3, v106
	;; [unrolled: 1-line block ×3, first 2 shown]
	v_fma_f32 v107, v108, v107, v106
	v_add_f32_e32 v104, v104, v107
	v_mov_b32_e32 v107, v37
	v_dot4c_i32_i8_e32 v107, v105, v21
	s_nop 2
	v_cvt_f32_i32_e32 v105, v107
	v_mov_b32_e32 v107, v37
	v_fmac_f32_e32 v106, v108, v105
	global_load_dword v105, v[68:69], off offset:44
	v_add_f32_e32 v104, v106, v104
	s_waitcnt vmcnt(0)
	v_and_b32_e32 v106, 0xf0f0f0f, v105
	v_dot4c_i32_i8_e32 v107, v106, v22
	global_load_dword v106, v[66:67], off offset:40
	v_lshrrev_b32_e32 v105, 4, v105
	v_and_b32_e32 v105, 0xf0f0f0f, v105
	v_cvt_f32_i32_e32 v107, v107
	s_waitcnt vmcnt(0)
	v_cvt_f32_f16_e32 v108, v106
	v_cvt_f32_f16_sdwa v106, v106 dst_sel:DWORD dst_unused:UNUSED_PAD src0_sel:WORD_1
	v_mul_f32_e32 v108, v4, v108
	v_mul_f32_e32 v106, v5, v106
	;; [unrolled: 1-line block ×3, first 2 shown]
	v_fma_f32 v107, v108, v107, v106
	v_add_f32_e32 v104, v104, v107
	v_mov_b32_e32 v107, v37
	v_dot4c_i32_i8_e32 v107, v105, v23
	s_nop 2
	v_cvt_f32_i32_e32 v105, v107
	v_fmac_f32_e32 v106, v108, v105
	global_load_dword v105, v[68:69], off offset:64
	v_add_f32_e32 v107, v106, v104
	v_mov_b32_e32 v108, v37
	s_waitcnt vmcnt(0)
	v_and_b32_e32 v104, 0xf0f0f0f, v105
	v_dot4c_i32_i8_e32 v108, v104, v24
	global_load_dword v104, v[66:67], off offset:60
	v_lshrrev_b32_e32 v105, 4, v105
	v_and_b32_e32 v105, 0xf0f0f0f, v105
	v_dot4c_i32_i8_e32 v110, v105, v25
	s_waitcnt vmcnt(0)
	v_cvt_f32_f16_e32 v106, v104
	v_cvt_f32_f16_sdwa v109, v104 dst_sel:DWORD dst_unused:UNUSED_PAD src0_sel:WORD_1
	v_mul_f32_e32 v104, v6, v106
	v_mul_f32_e32 v106, v7, v109
	v_cvt_f32_i32_e32 v109, v108
	v_cvt_f32_i32_e32 v108, v110
	v_mul_f32_e32 v106, 0x3e000000, v106
	v_mov_b32_e32 v110, v37
	v_pk_fma_f32 v[104:105], v[104:105], v[108:109], v[106:107] op_sel_hi:[0,1,0]
	v_add_f32_e32 v105, v107, v105
	v_add_f32_e32 v107, v104, v105
	global_load_dword v105, v[68:69], off offset:84
	v_mov_b32_e32 v108, v37
	s_waitcnt vmcnt(0)
	v_and_b32_e32 v104, 0xf0f0f0f, v105
	v_dot4c_i32_i8_e32 v108, v104, v26
	global_load_dword v104, v[66:67], off offset:80
	v_lshrrev_b32_e32 v105, 4, v105
	v_and_b32_e32 v105, 0xf0f0f0f, v105
	v_dot4c_i32_i8_e32 v110, v105, v27
	s_waitcnt vmcnt(0)
	v_cvt_f32_f16_e32 v106, v104
	v_cvt_f32_f16_sdwa v109, v104 dst_sel:DWORD dst_unused:UNUSED_PAD src0_sel:WORD_1
	v_mul_f32_e32 v104, v8, v106
	v_mul_f32_e32 v106, v9, v109
	v_cvt_f32_i32_e32 v109, v108
	v_cvt_f32_i32_e32 v108, v110
	v_mul_f32_e32 v106, 0x3e000000, v106
	v_mov_b32_e32 v110, v37
	v_pk_fma_f32 v[104:105], v[104:105], v[108:109], v[106:107] op_sel_hi:[0,1,0]
	v_add_f32_e32 v105, v107, v105
	v_add_f32_e32 v107, v104, v105
	global_load_dword v105, v[68:69], off offset:104
	;; [unrolled: 21-line block ×3, first 2 shown]
	v_mov_b32_e32 v108, v37
	global_load_dword v69, v[68:69], off offset:144
	s_waitcnt vmcnt(1)
	v_and_b32_e32 v104, 0xf0f0f0f, v105
	v_dot4c_i32_i8_e32 v108, v104, v30
	global_load_dword v104, v[66:67], off offset:120
	v_lshrrev_b32_e32 v105, 4, v105
	global_load_dword v66, v[66:67], off offset:140
	v_and_b32_e32 v105, 0xf0f0f0f, v105
	v_dot4c_i32_i8_e32 v110, v105, v31
	s_waitcnt vmcnt(2)
	v_and_b32_e32 v68, 0xf0f0f0f, v69
	s_waitcnt vmcnt(1)
	v_cvt_f32_f16_e32 v106, v104
	v_cvt_f32_f16_sdwa v109, v104 dst_sel:DWORD dst_unused:UNUSED_PAD src0_sel:WORD_1
	s_waitcnt vmcnt(0)
	v_cvt_f32_f16_e32 v67, v66
	v_mul_f32_e32 v104, v12, v106
	v_mul_f32_e32 v106, v13, v109
	v_cvt_f32_i32_e32 v109, v108
	v_cvt_f32_i32_e32 v108, v110
	v_mul_f32_e32 v106, 0x3e000000, v106
	v_pk_fma_f32 v[104:105], v[104:105], v[108:109], v[106:107] op_sel_hi:[0,1,0]
	v_add_f32_e32 v105, v107, v105
	v_add_f32_e32 v106, v104, v105
	v_mov_b32_e32 v104, v37
	v_dot4c_i32_i8_e32 v104, v68, v32
	v_cvt_f32_f16_sdwa v68, v66 dst_sel:DWORD dst_unused:UNUSED_PAD src0_sel:WORD_1
	v_mul_f32_e32 v66, v14, v67
	v_mul_f32_e32 v67, v15, v68
	;; [unrolled: 1-line block ×3, first 2 shown]
	v_lshrrev_b32_e32 v67, 4, v69
	v_and_b32_e32 v67, 0xf0f0f0f, v67
	v_mov_b32_e32 v69, v37
	v_dot4c_i32_i8_e32 v69, v67, v33
	v_cvt_f32_i32_e32 v105, v104
	s_nop 1
	v_cvt_f32_i32_e32 v104, v69
	v_pk_fma_f32 v[66:67], v[66:67], v[104:105], v[68:69] op_sel_hi:[0,1,0]
	v_add_f32_e32 v67, v106, v67
	v_add_f32_e32 v66, v66, v67
	ds_bpermute_b32 v67, v77, v66
	s_waitcnt lgkmcnt(0)
	v_add_f32_e32 v66, v66, v67
	ds_bpermute_b32 v67, v78, v66
	s_waitcnt lgkmcnt(0)
	v_add_f32_e32 v66, v66, v67
	v_cmp_nlt_f32_e64 s[38:39], |v66|, s44
                                        ; implicit-def: $vgpr67
	s_and_saveexec_b64 s[50:51], s[38:39]
	s_xor_b64 s[38:39], exec, s[50:51]
	s_cbranch_execz .LBB27_23
; %bb.22:                               ;   in Loop: Header=BB27_15 Depth=1
	v_add_f32_e64 v67, |v66|, |v66|
	v_mul_f32_e32 v68, 0x3fb8aa3b, v67
	v_rndne_f32_e32 v69, v68
	v_sub_f32_e32 v104, v68, v69
	v_fma_f32 v68, v67, s46, -v68
	v_fmac_f32_e32 v68, 0x32a5705f, v67
	v_add_f32_e32 v68, v104, v68
	v_cvt_i32_f32_e32 v69, v69
	v_exp_f32_e32 v68, v68
	v_cmp_ngt_f32_e32 vcc, s47, v67
	v_ldexp_f32 v68, v68, v69
	s_nop 0
	v_cndmask_b32_e32 v68, 0, v68, vcc
	v_cmp_nlt_f32_e32 vcc, s48, v67
	s_nop 1
	v_cndmask_b32_e32 v67, v85, v68, vcc
	v_add_f32_e32 v67, 1.0, v67
	v_rcp_f32_e32 v67, v67
	s_nop 0
	v_fma_f32 v67, v67, -2.0, 1.0
.LBB27_23:                              ;   in Loop: Header=BB27_15 Depth=1
	s_andn2_saveexec_b64 s[38:39], s[38:39]
; %bb.24:                               ;   in Loop: Header=BB27_15 Depth=1
	v_mul_f32_e32 v67, v66, v66
	v_fmamk_f32 v68, v67, 0xbbbac73d, v84
	v_fmaak_f32 v68, v67, v68, 0xbd5c1c4e
	v_fmaak_f32 v68, v67, v68, 0x3e088382
	;; [unrolled: 1-line block ×3, first 2 shown]
	v_mul_f32_e64 v68, |v66|, v68
	v_fma_f32 v67, v67, v68, |v66|
; %bb.25:                               ;   in Loop: Header=BB27_15 Depth=1
	s_or_b64 exec, exec, s[38:39]
	v_bfi_b32 v66, s49, v67, v66
	s_and_b64 vcc, exec, s[12:13]
	v_mul_f32_e32 v104, s45, v66
	s_cbranch_vccnz .LBB27_27
; %bb.26:                               ;   in Loop: Header=BB27_15 Depth=1
	global_load_ushort v66, v[64:65], off offset:2
	s_waitcnt vmcnt(0)
	v_fma_mix_f32 v104, v74, v66, v104 op_sel_hi:[0,1,0]
.LBB27_27:                              ;   in Loop: Header=BB27_15 Depth=1
	v_lshl_add_u64 v[66:67], s[36:37], 0, v[42:43]
	v_lshl_add_u64 v[68:69], v[66:67], 0, v[34:35]
	global_load_dword v105, v[68:69], off offset:4
	v_mov_b32_e32 v107, v37
	v_mov_b32_e32 v109, v37
	s_waitcnt vmcnt(0)
	v_and_b32_e32 v106, 0xf0f0f0f, v105
	v_dot4c_i32_i8_e32 v107, v106, v18
	global_load_dword v106, v[66:67], off
	v_lshrrev_b32_e32 v105, 4, v105
	v_and_b32_e32 v105, 0xf0f0f0f, v105
	v_cvt_f32_i32_e32 v107, v107
	v_dot4c_i32_i8_e32 v109, v105, v19
	s_waitcnt vmcnt(0)
	v_cvt_f32_f16_e32 v108, v106
	v_cvt_f32_f16_sdwa v106, v106 dst_sel:DWORD dst_unused:UNUSED_PAD src0_sel:WORD_1
	v_cvt_f32_i32_e32 v105, v109
	v_mul_f32_e32 v108, v0, v108
	v_mul_f32_e32 v106, v1, v106
	v_mul_f32_e32 v106, 0x3e000000, v106
	v_fma_f32 v107, v108, v107, v106
	v_add_f32_e32 v107, 0, v107
	v_fmac_f32_e32 v106, v108, v105
	v_add_f32_e32 v105, v106, v107
	global_load_dword v106, v[68:69], off offset:24
	v_mov_b32_e32 v108, v37
	s_waitcnt vmcnt(0)
	v_and_b32_e32 v107, 0xf0f0f0f, v106
	v_dot4c_i32_i8_e32 v108, v107, v20
	global_load_dword v107, v[66:67], off offset:20
	v_lshrrev_b32_e32 v106, 4, v106
	v_and_b32_e32 v106, 0xf0f0f0f, v106
	v_cvt_f32_i32_e32 v108, v108
	s_waitcnt vmcnt(0)
	v_cvt_f32_f16_e32 v109, v107
	v_cvt_f32_f16_sdwa v107, v107 dst_sel:DWORD dst_unused:UNUSED_PAD src0_sel:WORD_1
	v_mul_f32_e32 v109, v2, v109
	v_mul_f32_e32 v107, v3, v107
	v_mul_f32_e32 v107, 0x3e000000, v107
	v_fma_f32 v108, v109, v108, v107
	v_add_f32_e32 v105, v105, v108
	v_mov_b32_e32 v108, v37
	v_dot4c_i32_i8_e32 v108, v106, v21
	s_nop 2
	v_cvt_f32_i32_e32 v106, v108
	v_mov_b32_e32 v108, v37
	v_fmac_f32_e32 v107, v109, v106
	global_load_dword v106, v[68:69], off offset:44
	v_add_f32_e32 v105, v107, v105
	s_waitcnt vmcnt(0)
	v_and_b32_e32 v107, 0xf0f0f0f, v106
	v_dot4c_i32_i8_e32 v108, v107, v22
	global_load_dword v107, v[66:67], off offset:40
	v_lshrrev_b32_e32 v106, 4, v106
	v_and_b32_e32 v106, 0xf0f0f0f, v106
	v_cvt_f32_i32_e32 v108, v108
	s_waitcnt vmcnt(0)
	v_cvt_f32_f16_e32 v109, v107
	v_cvt_f32_f16_sdwa v107, v107 dst_sel:DWORD dst_unused:UNUSED_PAD src0_sel:WORD_1
	v_mul_f32_e32 v109, v4, v109
	v_mul_f32_e32 v107, v5, v107
	;; [unrolled: 1-line block ×3, first 2 shown]
	v_fma_f32 v108, v109, v108, v107
	v_add_f32_e32 v105, v105, v108
	v_mov_b32_e32 v108, v37
	v_dot4c_i32_i8_e32 v108, v106, v23
	s_nop 2
	v_cvt_f32_i32_e32 v106, v108
	v_fmac_f32_e32 v107, v109, v106
	v_add_f32_e32 v105, v107, v105
	global_load_dword v107, v[68:69], off offset:64
	v_mov_b32_e32 v109, v37
	s_waitcnt vmcnt(0)
	v_and_b32_e32 v106, 0xf0f0f0f, v107
	v_dot4c_i32_i8_e32 v109, v106, v24
	global_load_dword v106, v[66:67], off offset:60
	v_lshrrev_b32_e32 v107, 4, v107
	v_and_b32_e32 v107, 0xf0f0f0f, v107
	v_cvt_f32_i32_e32 v111, v109
	s_waitcnt vmcnt(0)
	v_cvt_f32_f16_e32 v108, v106
	v_cvt_f32_f16_sdwa v110, v106 dst_sel:DWORD dst_unused:UNUSED_PAD src0_sel:WORD_1
	v_mul_f32_e32 v106, v6, v108
	v_mul_f32_e32 v108, v7, v110
	v_mov_b32_e32 v110, v37
	v_dot4c_i32_i8_e32 v110, v107, v25
	v_mul_f32_e32 v108, 0x3e000000, v108
	s_nop 1
	v_cvt_f32_i32_e32 v110, v110
	v_pk_fma_f32 v[106:107], v[106:107], v[110:111], v[108:109] op_sel_hi:[0,1,0]
	v_add_f32_e32 v105, v105, v107
	global_load_dword v107, v[68:69], off offset:84
	v_add_f32_e32 v105, v106, v105
	v_mov_b32_e32 v109, v37
	s_waitcnt vmcnt(0)
	v_and_b32_e32 v106, 0xf0f0f0f, v107
	v_dot4c_i32_i8_e32 v109, v106, v26
	global_load_dword v106, v[66:67], off offset:80
	v_lshrrev_b32_e32 v107, 4, v107
	v_and_b32_e32 v107, 0xf0f0f0f, v107
	v_cvt_f32_i32_e32 v111, v109
	s_waitcnt vmcnt(0)
	v_cvt_f32_f16_e32 v108, v106
	v_cvt_f32_f16_sdwa v110, v106 dst_sel:DWORD dst_unused:UNUSED_PAD src0_sel:WORD_1
	v_mul_f32_e32 v106, v8, v108
	v_mul_f32_e32 v108, v9, v110
	v_mov_b32_e32 v110, v37
	v_dot4c_i32_i8_e32 v110, v107, v27
	v_mul_f32_e32 v108, 0x3e000000, v108
	s_nop 1
	v_cvt_f32_i32_e32 v110, v110
	v_pk_fma_f32 v[106:107], v[106:107], v[110:111], v[108:109] op_sel_hi:[0,1,0]
	v_add_f32_e32 v105, v105, v107
	global_load_dword v107, v[68:69], off offset:104
	v_add_f32_e32 v105, v106, v105
	;; [unrolled: 22-line block ×3, first 2 shown]
	v_mov_b32_e32 v109, v37
	global_load_dword v69, v[68:69], off offset:144
	s_waitcnt vmcnt(1)
	v_and_b32_e32 v106, 0xf0f0f0f, v107
	v_dot4c_i32_i8_e32 v109, v106, v30
	global_load_dword v106, v[66:67], off offset:120
	v_lshrrev_b32_e32 v107, 4, v107
	global_load_dword v66, v[66:67], off offset:140
	v_and_b32_e32 v107, 0xf0f0f0f, v107
	v_cvt_f32_i32_e32 v111, v109
	s_waitcnt vmcnt(2)
	v_and_b32_e32 v68, 0xf0f0f0f, v69
	s_waitcnt vmcnt(1)
	v_cvt_f32_f16_e32 v108, v106
	v_cvt_f32_f16_sdwa v110, v106 dst_sel:DWORD dst_unused:UNUSED_PAD src0_sel:WORD_1
	s_waitcnt vmcnt(0)
	v_cvt_f32_f16_e32 v67, v66
	v_mul_f32_e32 v106, v12, v108
	v_mul_f32_e32 v108, v13, v110
	v_mov_b32_e32 v110, v37
	v_dot4c_i32_i8_e32 v110, v107, v31
	v_mul_f32_e32 v108, 0x3e000000, v108
	s_nop 1
	v_cvt_f32_i32_e32 v110, v110
	v_pk_fma_f32 v[106:107], v[106:107], v[110:111], v[108:109] op_sel_hi:[0,1,0]
	v_add_f32_e32 v105, v105, v107
	v_add_f32_e32 v105, v106, v105
	v_mov_b32_e32 v106, v37
	v_dot4c_i32_i8_e32 v106, v68, v32
	v_cvt_f32_f16_sdwa v68, v66 dst_sel:DWORD dst_unused:UNUSED_PAD src0_sel:WORD_1
	v_mul_f32_e32 v66, v14, v67
	v_mul_f32_e32 v67, v15, v68
	v_mul_f32_e32 v68, 0x3e000000, v67
	v_lshrrev_b32_e32 v67, 4, v69
	v_and_b32_e32 v67, 0xf0f0f0f, v67
	v_mov_b32_e32 v69, v37
	v_dot4c_i32_i8_e32 v69, v67, v33
	v_cvt_f32_i32_e32 v107, v106
	s_nop 1
	v_cvt_f32_i32_e32 v106, v69
	v_pk_fma_f32 v[66:67], v[66:67], v[106:107], v[68:69] op_sel_hi:[0,1,0]
	v_add_f32_e32 v67, v105, v67
	v_add_f32_e32 v66, v66, v67
	ds_bpermute_b32 v67, v77, v66
	s_waitcnt lgkmcnt(0)
	v_add_f32_e32 v66, v66, v67
	ds_bpermute_b32 v67, v78, v66
	s_waitcnt lgkmcnt(0)
	v_add_f32_e32 v66, v66, v67
	v_cmp_nlt_f32_e64 s[38:39], |v66|, s44
                                        ; implicit-def: $vgpr67
	s_and_saveexec_b64 s[50:51], s[38:39]
	s_xor_b64 s[38:39], exec, s[50:51]
	s_cbranch_execz .LBB27_29
; %bb.28:                               ;   in Loop: Header=BB27_15 Depth=1
	v_add_f32_e64 v67, |v66|, |v66|
	v_mul_f32_e32 v68, 0x3fb8aa3b, v67
	v_rndne_f32_e32 v69, v68
	v_sub_f32_e32 v105, v68, v69
	v_fma_f32 v68, v67, s46, -v68
	v_fmac_f32_e32 v68, 0x32a5705f, v67
	v_add_f32_e32 v68, v105, v68
	v_cvt_i32_f32_e32 v69, v69
	v_exp_f32_e32 v68, v68
	v_cmp_ngt_f32_e32 vcc, s47, v67
	v_ldexp_f32 v68, v68, v69
	s_nop 0
	v_cndmask_b32_e32 v68, 0, v68, vcc
	v_cmp_nlt_f32_e32 vcc, s48, v67
	s_nop 1
	v_cndmask_b32_e32 v67, v85, v68, vcc
	v_add_f32_e32 v67, 1.0, v67
	v_rcp_f32_e32 v67, v67
	s_nop 0
	v_fma_f32 v67, v67, -2.0, 1.0
.LBB27_29:                              ;   in Loop: Header=BB27_15 Depth=1
	s_andn2_saveexec_b64 s[38:39], s[38:39]
; %bb.30:                               ;   in Loop: Header=BB27_15 Depth=1
	v_mul_f32_e32 v67, v66, v66
	v_fmamk_f32 v68, v67, 0xbbbac73d, v84
	v_fmaak_f32 v68, v67, v68, 0xbd5c1c4e
	v_fmaak_f32 v68, v67, v68, 0x3e088382
	v_fmaak_f32 v68, v67, v68, 0xbeaaaa99
	v_mul_f32_e64 v68, |v66|, v68
	v_fma_f32 v67, v67, v68, |v66|
; %bb.31:                               ;   in Loop: Header=BB27_15 Depth=1
	s_or_b64 exec, exec, s[38:39]
	v_bfi_b32 v66, s49, v67, v66
	s_and_b64 vcc, exec, s[12:13]
	v_mul_f32_e32 v105, s45, v66
	s_cbranch_vccnz .LBB27_33
; %bb.32:                               ;   in Loop: Header=BB27_15 Depth=1
	global_load_ushort v66, v[64:65], off offset:4
	s_waitcnt vmcnt(0)
	v_fma_mix_f32 v105, v74, v66, v105 op_sel_hi:[0,1,0]
.LBB27_33:                              ;   in Loop: Header=BB27_15 Depth=1
	v_lshl_add_u64 v[66:67], s[36:37], 0, v[44:45]
	v_lshl_add_u64 v[68:69], v[66:67], 0, v[34:35]
	global_load_dword v106, v[68:69], off offset:4
	v_mov_b32_e32 v108, v37
	v_mov_b32_e32 v110, v37
	;; [unrolled: 1-line block ×3, first 2 shown]
	s_waitcnt vmcnt(0)
	v_and_b32_e32 v107, 0xf0f0f0f, v106
	v_dot4c_i32_i8_e32 v108, v107, v18
	global_load_dword v107, v[66:67], off
	v_lshrrev_b32_e32 v106, 4, v106
	v_and_b32_e32 v106, 0xf0f0f0f, v106
	v_cvt_f32_i32_e32 v108, v108
	v_dot4c_i32_i8_e32 v110, v106, v19
	s_waitcnt vmcnt(0)
	v_cvt_f32_f16_e32 v109, v107
	v_cvt_f32_f16_sdwa v107, v107 dst_sel:DWORD dst_unused:UNUSED_PAD src0_sel:WORD_1
	v_cvt_f32_i32_e32 v106, v110
	v_mul_f32_e32 v109, v0, v109
	v_mul_f32_e32 v107, v1, v107
	;; [unrolled: 1-line block ×3, first 2 shown]
	v_fma_f32 v108, v109, v108, v107
	v_add_f32_e32 v108, 0, v108
	v_fmac_f32_e32 v107, v109, v106
	v_add_f32_e32 v106, v107, v108
	global_load_dword v107, v[68:69], off offset:24
	v_mov_b32_e32 v109, v37
	s_waitcnt vmcnt(0)
	v_and_b32_e32 v108, 0xf0f0f0f, v107
	v_dot4c_i32_i8_e32 v109, v108, v20
	global_load_dword v108, v[66:67], off offset:20
	v_lshrrev_b32_e32 v107, 4, v107
	v_and_b32_e32 v107, 0xf0f0f0f, v107
	v_cvt_f32_i32_e32 v109, v109
	s_waitcnt vmcnt(0)
	v_cvt_f32_f16_e32 v110, v108
	v_cvt_f32_f16_sdwa v108, v108 dst_sel:DWORD dst_unused:UNUSED_PAD src0_sel:WORD_1
	v_mul_f32_e32 v110, v2, v110
	v_mul_f32_e32 v108, v3, v108
	v_mul_f32_e32 v108, 0x3e000000, v108
	v_fma_f32 v109, v110, v109, v108
	v_add_f32_e32 v106, v106, v109
	v_mov_b32_e32 v109, v37
	v_dot4c_i32_i8_e32 v109, v107, v21
	s_nop 2
	v_cvt_f32_i32_e32 v107, v109
	v_mov_b32_e32 v109, v37
	v_fmac_f32_e32 v108, v110, v107
	global_load_dword v107, v[68:69], off offset:44
	v_add_f32_e32 v106, v108, v106
	s_waitcnt vmcnt(0)
	v_and_b32_e32 v108, 0xf0f0f0f, v107
	v_dot4c_i32_i8_e32 v109, v108, v22
	global_load_dword v108, v[66:67], off offset:40
	v_lshrrev_b32_e32 v107, 4, v107
	v_and_b32_e32 v107, 0xf0f0f0f, v107
	v_cvt_f32_i32_e32 v109, v109
	s_waitcnt vmcnt(0)
	v_cvt_f32_f16_e32 v110, v108
	v_cvt_f32_f16_sdwa v108, v108 dst_sel:DWORD dst_unused:UNUSED_PAD src0_sel:WORD_1
	v_mul_f32_e32 v110, v4, v110
	v_mul_f32_e32 v108, v5, v108
	;; [unrolled: 1-line block ×3, first 2 shown]
	v_fma_f32 v109, v110, v109, v108
	v_add_f32_e32 v106, v106, v109
	v_mov_b32_e32 v109, v37
	v_dot4c_i32_i8_e32 v109, v107, v23
	s_nop 2
	v_cvt_f32_i32_e32 v107, v109
	v_fmac_f32_e32 v108, v110, v107
	global_load_dword v107, v[68:69], off offset:64
	v_add_f32_e32 v109, v108, v106
	v_mov_b32_e32 v110, v37
	s_waitcnt vmcnt(0)
	v_and_b32_e32 v106, 0xf0f0f0f, v107
	v_dot4c_i32_i8_e32 v110, v106, v24
	global_load_dword v106, v[66:67], off offset:60
	v_lshrrev_b32_e32 v107, 4, v107
	v_and_b32_e32 v107, 0xf0f0f0f, v107
	v_dot4c_i32_i8_e32 v112, v107, v25
	s_waitcnt vmcnt(0)
	v_cvt_f32_f16_e32 v108, v106
	v_cvt_f32_f16_sdwa v111, v106 dst_sel:DWORD dst_unused:UNUSED_PAD src0_sel:WORD_1
	v_mul_f32_e32 v106, v6, v108
	v_mul_f32_e32 v108, v7, v111
	v_cvt_f32_i32_e32 v111, v110
	v_cvt_f32_i32_e32 v110, v112
	v_mul_f32_e32 v108, 0x3e000000, v108
	v_mov_b32_e32 v112, v37
	v_pk_fma_f32 v[106:107], v[106:107], v[110:111], v[108:109] op_sel_hi:[0,1,0]
	v_add_f32_e32 v107, v109, v107
	v_add_f32_e32 v109, v106, v107
	global_load_dword v107, v[68:69], off offset:84
	v_mov_b32_e32 v110, v37
	s_waitcnt vmcnt(0)
	v_and_b32_e32 v106, 0xf0f0f0f, v107
	v_dot4c_i32_i8_e32 v110, v106, v26
	global_load_dword v106, v[66:67], off offset:80
	v_lshrrev_b32_e32 v107, 4, v107
	v_and_b32_e32 v107, 0xf0f0f0f, v107
	v_dot4c_i32_i8_e32 v112, v107, v27
	s_waitcnt vmcnt(0)
	v_cvt_f32_f16_e32 v108, v106
	v_cvt_f32_f16_sdwa v111, v106 dst_sel:DWORD dst_unused:UNUSED_PAD src0_sel:WORD_1
	v_mul_f32_e32 v106, v8, v108
	v_mul_f32_e32 v108, v9, v111
	v_cvt_f32_i32_e32 v111, v110
	v_cvt_f32_i32_e32 v110, v112
	v_mul_f32_e32 v108, 0x3e000000, v108
	v_mov_b32_e32 v112, v37
	v_pk_fma_f32 v[106:107], v[106:107], v[110:111], v[108:109] op_sel_hi:[0,1,0]
	v_add_f32_e32 v107, v109, v107
	v_add_f32_e32 v109, v106, v107
	global_load_dword v107, v[68:69], off offset:104
	;; [unrolled: 21-line block ×3, first 2 shown]
	v_mov_b32_e32 v110, v37
	global_load_dword v69, v[68:69], off offset:144
	s_waitcnt vmcnt(1)
	v_and_b32_e32 v106, 0xf0f0f0f, v107
	v_dot4c_i32_i8_e32 v110, v106, v30
	global_load_dword v106, v[66:67], off offset:120
	v_lshrrev_b32_e32 v107, 4, v107
	global_load_dword v66, v[66:67], off offset:140
	v_and_b32_e32 v107, 0xf0f0f0f, v107
	v_dot4c_i32_i8_e32 v112, v107, v31
	s_waitcnt vmcnt(2)
	v_and_b32_e32 v68, 0xf0f0f0f, v69
	s_waitcnt vmcnt(1)
	v_cvt_f32_f16_e32 v108, v106
	v_cvt_f32_f16_sdwa v111, v106 dst_sel:DWORD dst_unused:UNUSED_PAD src0_sel:WORD_1
	s_waitcnt vmcnt(0)
	v_cvt_f32_f16_e32 v67, v66
	v_mul_f32_e32 v106, v12, v108
	v_mul_f32_e32 v108, v13, v111
	v_cvt_f32_i32_e32 v111, v110
	v_cvt_f32_i32_e32 v110, v112
	v_mul_f32_e32 v108, 0x3e000000, v108
	v_pk_fma_f32 v[106:107], v[106:107], v[110:111], v[108:109] op_sel_hi:[0,1,0]
	v_add_f32_e32 v107, v109, v107
	v_add_f32_e32 v108, v106, v107
	v_mov_b32_e32 v106, v37
	v_dot4c_i32_i8_e32 v106, v68, v32
	v_cvt_f32_f16_sdwa v68, v66 dst_sel:DWORD dst_unused:UNUSED_PAD src0_sel:WORD_1
	v_mul_f32_e32 v66, v14, v67
	v_mul_f32_e32 v67, v15, v68
	;; [unrolled: 1-line block ×3, first 2 shown]
	v_lshrrev_b32_e32 v67, 4, v69
	v_and_b32_e32 v67, 0xf0f0f0f, v67
	v_mov_b32_e32 v69, v37
	v_dot4c_i32_i8_e32 v69, v67, v33
	v_cvt_f32_i32_e32 v107, v106
	s_nop 1
	v_cvt_f32_i32_e32 v106, v69
	v_pk_fma_f32 v[66:67], v[66:67], v[106:107], v[68:69] op_sel_hi:[0,1,0]
	v_add_f32_e32 v67, v108, v67
	v_add_f32_e32 v66, v66, v67
	ds_bpermute_b32 v67, v77, v66
	s_waitcnt lgkmcnt(0)
	v_add_f32_e32 v66, v66, v67
	ds_bpermute_b32 v67, v78, v66
	s_waitcnt lgkmcnt(0)
	v_add_f32_e32 v66, v66, v67
	v_cmp_nlt_f32_e64 s[38:39], |v66|, s44
                                        ; implicit-def: $vgpr67
	s_and_saveexec_b64 s[50:51], s[38:39]
	s_xor_b64 s[38:39], exec, s[50:51]
	s_cbranch_execz .LBB27_35
; %bb.34:                               ;   in Loop: Header=BB27_15 Depth=1
	v_add_f32_e64 v67, |v66|, |v66|
	v_mul_f32_e32 v68, 0x3fb8aa3b, v67
	v_rndne_f32_e32 v69, v68
	v_sub_f32_e32 v106, v68, v69
	v_fma_f32 v68, v67, s46, -v68
	v_fmac_f32_e32 v68, 0x32a5705f, v67
	v_add_f32_e32 v68, v106, v68
	v_cvt_i32_f32_e32 v69, v69
	v_exp_f32_e32 v68, v68
	v_cmp_ngt_f32_e32 vcc, s47, v67
	v_ldexp_f32 v68, v68, v69
	s_nop 0
	v_cndmask_b32_e32 v68, 0, v68, vcc
	v_cmp_nlt_f32_e32 vcc, s48, v67
	s_nop 1
	v_cndmask_b32_e32 v67, v85, v68, vcc
	v_add_f32_e32 v67, 1.0, v67
	v_rcp_f32_e32 v67, v67
	s_nop 0
	v_fma_f32 v67, v67, -2.0, 1.0
.LBB27_35:                              ;   in Loop: Header=BB27_15 Depth=1
	s_andn2_saveexec_b64 s[38:39], s[38:39]
; %bb.36:                               ;   in Loop: Header=BB27_15 Depth=1
	v_mul_f32_e32 v67, v66, v66
	v_fmamk_f32 v68, v67, 0xbbbac73d, v84
	v_fmaak_f32 v68, v67, v68, 0xbd5c1c4e
	v_fmaak_f32 v68, v67, v68, 0x3e088382
	;; [unrolled: 1-line block ×3, first 2 shown]
	v_mul_f32_e64 v68, |v66|, v68
	v_fma_f32 v67, v67, v68, |v66|
; %bb.37:                               ;   in Loop: Header=BB27_15 Depth=1
	s_or_b64 exec, exec, s[38:39]
	v_bfi_b32 v66, s49, v67, v66
	s_and_b64 vcc, exec, s[12:13]
	v_mul_f32_e32 v66, s45, v66
	s_cbranch_vccnz .LBB27_39
; %bb.38:                               ;   in Loop: Header=BB27_15 Depth=1
	global_load_ushort v64, v[64:65], off offset:6
	s_waitcnt vmcnt(0)
	v_fma_mix_f32 v66, v74, v64, v66 op_sel_hi:[0,1,0]
.LBB27_39:                              ;   in Loop: Header=BB27_15 Depth=1
	v_add_f32_e32 v64, 0x40051340, v103
	v_add_f32_e32 v67, 0x40051340, v104
	v_max3_f32 v64, v102, v64, v67
	v_add_f32_e32 v67, 0x40051340, v105
	v_add_f32_e32 v68, 0x40051340, v66
	v_max3_f32 v64, v64, v67, v68
	ds_bpermute_b32 v67, v79, v64
	v_cndmask_b32_e64 v65, v86, v103, s[6:7]
	v_cndmask_b32_e64 v65, v65, v104, s[8:9]
	;; [unrolled: 1-line block ×4, first 2 shown]
	s_waitcnt lgkmcnt(0)
	v_max_f32_e32 v67, v67, v67
	v_max_f32_e32 v64, v64, v67
	ds_bpermute_b32 v67, v80, v64
	s_add_i32 s16, s26, s16
	s_add_u32 s36, s36, s17
	s_addc_u32 s37, s37, 0
	s_waitcnt lgkmcnt(0)
	v_max_f32_e32 v67, v67, v67
	v_max_f32_e32 v64, v64, v67
	ds_bpermute_b32 v67, v81, v64
	s_waitcnt lgkmcnt(0)
	v_max_f32_e32 v67, v67, v67
	v_max_f32_e32 v64, v64, v67
	v_sub_f32_e32 v66, v102, v64
	v_mul_f32_e32 v67, 0x3fb8aa3b, v66
	v_fma_f32 v68, v66, s46, -v67
	v_rndne_f32_e32 v69, v67
	v_fmac_f32_e32 v68, 0x32a5705f, v66
	v_sub_f32_e32 v67, v67, v69
	v_add_f32_e32 v67, v67, v68
	v_exp_f32_e32 v67, v67
	v_cvt_i32_f32_e32 v68, v69
	v_cmp_ngt_f32_e32 vcc, s47, v66
	v_sub_f32_e32 v65, v65, v64
	v_ldexp_f32 v67, v67, v68
	v_cndmask_b32_e32 v67, 0, v67, vcc
	v_cmp_nlt_f32_e32 vcc, s48, v66
	s_nop 1
	v_cndmask_b32_e32 v66, v85, v67, vcc
	v_mul_f32_e32 v67, 0x3fb8aa3b, v65
	v_fma_f32 v68, v65, s46, -v67
	v_rndne_f32_e32 v69, v67
	v_fmac_f32_e32 v68, 0x32a5705f, v65
	v_sub_f32_e32 v67, v67, v69
	v_add_f32_e32 v67, v67, v68
	v_exp_f32_e32 v67, v67
	v_cvt_i32_f32_e32 v68, v69
	v_cmp_ngt_f32_e32 vcc, s47, v65
	v_ldexp_f32 v67, v67, v68
	s_nop 0
	v_cndmask_b32_e32 v67, 0, v67, vcc
	v_cmp_nlt_f32_e32 vcc, s48, v65
	v_cvt_f16_f32_e32 v65, v66
	v_lshl_add_u64 v[68:69], s[20:21], 0, v[46:47]
	v_cndmask_b32_e32 v86, v85, v67, vcc
	v_fma_f32 v76, v76, v66, v86
	v_mul_u32_u24_e32 v65, 0x10001, v65
	v_pk_mul_f16 v66, v63, v65
	v_cvt_f16_f32_e32 v63, v86
	v_pk_mul_f16 v102, v89, v65
	v_pk_mul_f16 v87, v87, v65
	;; [unrolled: 1-line block ×3, first 2 shown]
	ds_write_b16 v73, v63
	ds_read_u16 v63, v82
	ds_read_u16 v67, v82 offset:32
	v_pk_mul_f16 v93, v93, v65
	v_pk_mul_f16 v92, v92, v65
	;; [unrolled: 1-line block ×12, first 2 shown]
	s_waitcnt lgkmcnt(1)
	v_mul_u32_u24_e32 v98, 0x10001, v63
	v_mov_b32_e32 v63, v37
	v_lshl_add_u64 v[68:69], v[68:69], 0, v[62:63]
	global_load_dwordx4 v[88:91], v[68:69], off
	s_waitcnt lgkmcnt(0)
	v_mul_u32_u24_e32 v67, 0x10001, v67
	s_waitcnt vmcnt(0)
	v_lshlrev_b32_e32 v106, 16, v88
	v_and_b32_e32 v88, 0xffff0000, v88
	v_lshlrev_b32_e32 v107, 16, v89
	v_and_b32_e32 v89, 0xffff0000, v89
	;; [unrolled: 2-line block ×4, first 2 shown]
	v_cvt_pk_f16_f32 v88, v106, v88
	v_cvt_pk_f16_f32 v89, v107, v89
	;; [unrolled: 1-line block ×4, first 2 shown]
	v_pk_fma_f16 v106, v88, v98, v66
	v_pk_fma_f16 v102, v89, v98, v102
	;; [unrolled: 1-line block ×4, first 2 shown]
	global_load_dwordx4 v[88:91], v[68:69], off offset:128
	s_waitcnt vmcnt(0)
	v_lshlrev_b32_e32 v66, 16, v88
	v_and_b32_e32 v88, 0xffff0000, v88
	v_lshlrev_b32_e32 v107, 16, v89
	v_and_b32_e32 v89, 0xffff0000, v89
	;; [unrolled: 2-line block ×4, first 2 shown]
	v_cvt_pk_f16_f32 v66, v66, v88
	v_cvt_pk_f16_f32 v88, v107, v89
	;; [unrolled: 1-line block ×4, first 2 shown]
	v_pk_fma_f16 v108, v88, v98, v92
	v_pk_fma_f16 v104, v89, v98, v104
	;; [unrolled: 1-line block ×3, first 2 shown]
	global_load_dwordx4 v[88:91], v[68:69], off offset:256
	v_pk_fma_f16 v107, v66, v98, v93
	s_waitcnt vmcnt(0)
	v_lshlrev_b32_e32 v66, 16, v88
	v_and_b32_e32 v88, 0xffff0000, v88
	v_lshlrev_b32_e32 v92, 16, v89
	v_and_b32_e32 v89, 0xffff0000, v89
	;; [unrolled: 2-line block ×4, first 2 shown]
	v_cvt_pk_f16_f32 v66, v66, v88
	v_cvt_pk_f16_f32 v88, v92, v89
	;; [unrolled: 1-line block ×4, first 2 shown]
	v_pk_fma_f16 v96, v88, v98, v96
	v_pk_fma_f16 v95, v89, v98, v95
	;; [unrolled: 1-line block ×3, first 2 shown]
	global_load_dwordx4 v[88:91], v[68:69], off offset:384
	v_pk_fma_f16 v97, v66, v98, v97
	s_waitcnt vmcnt(0)
	v_lshlrev_b32_e32 v66, 16, v88
	v_and_b32_e32 v68, 0xffff0000, v88
	v_lshlrev_b32_e32 v69, 16, v89
	v_and_b32_e32 v88, 0xffff0000, v89
	;; [unrolled: 2-line block ×4, first 2 shown]
	v_cvt_pk_f16_f32 v66, v66, v68
	v_cvt_pk_f16_f32 v68, v69, v88
	;; [unrolled: 1-line block ×4, first 2 shown]
	v_pk_fma_f16 v101, v66, v98, v101
	v_pk_fma_f16 v100, v68, v98, v100
	;; [unrolled: 1-line block ×4, first 2 shown]
	ds_read_u16 v88, v83 offset:8
	ds_read_u16 v99, v83 offset:16
	;; [unrolled: 1-line block ×6, first 2 shown]
	s_waitcnt lgkmcnt(5)
	v_mul_u32_u24_e32 v110, 0x10001, v88
	v_lshl_add_u64 v[88:89], s[20:21], 0, v[48:49]
	v_lshl_add_u64 v[92:93], v[88:89], 0, v[62:63]
	global_load_dwordx4 v[88:91], v[92:93], off
	s_waitcnt lgkmcnt(4)
	v_mul_u32_u24_e32 v99, 0x10001, v99
	s_waitcnt lgkmcnt(0)
	v_mul_u32_u24_e32 v65, 0x10001, v65
	s_waitcnt vmcnt(0)
	v_lshlrev_b32_e32 v111, 16, v88
	v_and_b32_e32 v88, 0xffff0000, v88
	v_lshlrev_b32_e32 v112, 16, v89
	v_and_b32_e32 v89, 0xffff0000, v89
	v_lshlrev_b32_e32 v113, 16, v90
	v_and_b32_e32 v90, 0xffff0000, v90
	v_lshlrev_b32_e32 v114, 16, v91
	v_and_b32_e32 v91, 0xffff0000, v91
	v_cvt_pk_f16_f32 v88, v111, v88
	v_cvt_pk_f16_f32 v89, v112, v89
	v_cvt_pk_f16_f32 v90, v113, v90
	v_cvt_pk_f16_f32 v91, v114, v91
	v_pk_fma_f16 v106, v88, v110, v106
	v_pk_fma_f16 v102, v89, v110, v102
	v_pk_fma_f16 v87, v90, v110, v87
	v_pk_fma_f16 v103, v91, v110, v103
	global_load_dwordx4 v[88:91], v[92:93], off offset:128
	s_waitcnt vmcnt(0)
	v_lshlrev_b32_e32 v111, 16, v88
	v_and_b32_e32 v88, 0xffff0000, v88
	v_lshlrev_b32_e32 v112, 16, v89
	v_and_b32_e32 v89, 0xffff0000, v89
	v_lshlrev_b32_e32 v113, 16, v90
	v_and_b32_e32 v90, 0xffff0000, v90
	v_lshlrev_b32_e32 v114, 16, v91
	v_and_b32_e32 v91, 0xffff0000, v91
	v_cvt_pk_f16_f32 v88, v111, v88
	v_cvt_pk_f16_f32 v89, v112, v89
	v_cvt_pk_f16_f32 v90, v113, v90
	v_cvt_pk_f16_f32 v91, v114, v91
	v_pk_fma_f16 v107, v88, v110, v107
	v_pk_fma_f16 v108, v89, v110, v108
	v_pk_fma_f16 v104, v90, v110, v104
	v_pk_fma_f16 v105, v91, v110, v105
	global_load_dwordx4 v[88:91], v[92:93], off offset:256
	s_waitcnt vmcnt(0)
	v_lshlrev_b32_e32 v111, 16, v88
	v_and_b32_e32 v88, 0xffff0000, v88
	v_lshlrev_b32_e32 v112, 16, v89
	v_and_b32_e32 v89, 0xffff0000, v89
	v_lshlrev_b32_e32 v113, 16, v90
	v_and_b32_e32 v90, 0xffff0000, v90
	v_lshlrev_b32_e32 v114, 16, v91
	v_and_b32_e32 v91, 0xffff0000, v91
	v_cvt_pk_f16_f32 v88, v111, v88
	v_cvt_pk_f16_f32 v89, v112, v89
	v_cvt_pk_f16_f32 v90, v113, v90
	v_cvt_pk_f16_f32 v91, v114, v91
	v_pk_fma_f16 v97, v88, v110, v97
	v_pk_fma_f16 v96, v89, v110, v96
	v_pk_fma_f16 v95, v90, v110, v95
	v_pk_fma_f16 v94, v91, v110, v94
	global_load_dwordx4 v[88:91], v[92:93], off offset:384
	s_waitcnt vmcnt(0)
	v_lshlrev_b32_e32 v92, 16, v88
	v_and_b32_e32 v88, 0xffff0000, v88
	v_lshlrev_b32_e32 v93, 16, v89
	v_and_b32_e32 v89, 0xffff0000, v89
	v_cvt_pk_f16_f32 v88, v92, v88
	v_cvt_pk_f16_f32 v89, v93, v89
	v_lshlrev_b32_e32 v111, 16, v90
	v_and_b32_e32 v90, 0xffff0000, v90
	v_lshlrev_b32_e32 v112, 16, v91
	v_and_b32_e32 v91, 0xffff0000, v91
	v_pk_fma_f16 v101, v88, v110, v101
	v_pk_fma_f16 v100, v89, v110, v100
	v_lshl_add_u64 v[88:89], s[20:21], 0, v[50:51]
	v_cvt_pk_f16_f32 v90, v111, v90
	v_cvt_pk_f16_f32 v91, v112, v91
	v_lshl_add_u64 v[92:93], v[88:89], 0, v[62:63]
	v_pk_fma_f16 v69, v90, v110, v69
	v_pk_fma_f16 v98, v91, v110, v98
	global_load_dwordx4 v[88:91], v[92:93], off
	s_waitcnt vmcnt(0)
	v_lshlrev_b32_e32 v110, 16, v88
	v_and_b32_e32 v88, 0xffff0000, v88
	v_lshlrev_b32_e32 v111, 16, v89
	v_and_b32_e32 v89, 0xffff0000, v89
	v_lshlrev_b32_e32 v112, 16, v90
	v_and_b32_e32 v90, 0xffff0000, v90
	v_lshlrev_b32_e32 v113, 16, v91
	v_and_b32_e32 v91, 0xffff0000, v91
	v_cvt_pk_f16_f32 v88, v110, v88
	v_cvt_pk_f16_f32 v89, v111, v89
	v_cvt_pk_f16_f32 v90, v112, v90
	v_cvt_pk_f16_f32 v91, v113, v91
	v_pk_fma_f16 v106, v88, v99, v106
	v_pk_fma_f16 v102, v89, v99, v102
	v_pk_fma_f16 v87, v90, v99, v87
	v_pk_fma_f16 v103, v91, v99, v103
	global_load_dwordx4 v[88:91], v[92:93], off offset:128
	s_waitcnt vmcnt(0)
	v_lshlrev_b32_e32 v110, 16, v88
	v_and_b32_e32 v88, 0xffff0000, v88
	v_lshlrev_b32_e32 v111, 16, v89
	v_and_b32_e32 v89, 0xffff0000, v89
	v_lshlrev_b32_e32 v112, 16, v90
	v_and_b32_e32 v90, 0xffff0000, v90
	v_lshlrev_b32_e32 v113, 16, v91
	v_and_b32_e32 v91, 0xffff0000, v91
	v_cvt_pk_f16_f32 v88, v110, v88
	v_cvt_pk_f16_f32 v89, v111, v89
	v_cvt_pk_f16_f32 v90, v112, v90
	v_cvt_pk_f16_f32 v91, v113, v91
	v_pk_fma_f16 v107, v88, v99, v107
	v_pk_fma_f16 v108, v89, v99, v108
	v_pk_fma_f16 v104, v90, v99, v104
	v_pk_fma_f16 v105, v91, v99, v105
	global_load_dwordx4 v[88:91], v[92:93], off offset:256
	;; [unrolled: 18-line block ×3, first 2 shown]
	s_waitcnt vmcnt(0)
	v_lshlrev_b32_e32 v92, 16, v88
	v_and_b32_e32 v88, 0xffff0000, v88
	v_lshlrev_b32_e32 v93, 16, v89
	v_and_b32_e32 v89, 0xffff0000, v89
	v_cvt_pk_f16_f32 v88, v92, v88
	v_cvt_pk_f16_f32 v89, v93, v89
	v_lshlrev_b32_e32 v110, 16, v90
	v_and_b32_e32 v90, 0xffff0000, v90
	v_lshlrev_b32_e32 v111, 16, v91
	v_and_b32_e32 v91, 0xffff0000, v91
	v_pk_fma_f16 v101, v88, v99, v101
	v_pk_fma_f16 v100, v89, v99, v100
	v_lshl_add_u64 v[88:89], s[20:21], 0, v[52:53]
	v_cvt_pk_f16_f32 v90, v110, v90
	v_cvt_pk_f16_f32 v91, v111, v91
	v_lshl_add_u64 v[92:93], v[88:89], 0, v[62:63]
	v_pk_fma_f16 v69, v90, v99, v69
	v_pk_fma_f16 v98, v91, v99, v98
	global_load_dwordx4 v[88:91], v[92:93], off
	v_mul_u32_u24_e32 v99, 0x10001, v109
	s_waitcnt vmcnt(0)
	v_lshlrev_b32_e32 v109, 16, v88
	v_and_b32_e32 v88, 0xffff0000, v88
	v_lshlrev_b32_e32 v110, 16, v89
	v_and_b32_e32 v89, 0xffff0000, v89
	v_lshlrev_b32_e32 v111, 16, v90
	v_and_b32_e32 v90, 0xffff0000, v90
	v_lshlrev_b32_e32 v112, 16, v91
	v_and_b32_e32 v91, 0xffff0000, v91
	v_cvt_pk_f16_f32 v88, v109, v88
	v_cvt_pk_f16_f32 v89, v110, v89
	v_cvt_pk_f16_f32 v90, v111, v90
	v_cvt_pk_f16_f32 v91, v112, v91
	v_pk_fma_f16 v106, v88, v99, v106
	v_pk_fma_f16 v102, v89, v99, v102
	v_pk_fma_f16 v87, v90, v99, v87
	v_pk_fma_f16 v103, v91, v99, v103
	global_load_dwordx4 v[88:91], v[92:93], off offset:128
	s_waitcnt vmcnt(0)
	v_lshlrev_b32_e32 v109, 16, v88
	v_and_b32_e32 v88, 0xffff0000, v88
	v_lshlrev_b32_e32 v110, 16, v89
	v_and_b32_e32 v89, 0xffff0000, v89
	v_lshlrev_b32_e32 v111, 16, v90
	v_and_b32_e32 v90, 0xffff0000, v90
	v_lshlrev_b32_e32 v112, 16, v91
	v_and_b32_e32 v91, 0xffff0000, v91
	v_cvt_pk_f16_f32 v88, v109, v88
	v_cvt_pk_f16_f32 v89, v110, v89
	v_cvt_pk_f16_f32 v90, v111, v90
	v_cvt_pk_f16_f32 v91, v112, v91
	v_pk_fma_f16 v107, v88, v99, v107
	v_pk_fma_f16 v108, v89, v99, v108
	v_pk_fma_f16 v104, v90, v99, v104
	v_pk_fma_f16 v105, v91, v99, v105
	global_load_dwordx4 v[88:91], v[92:93], off offset:256
	;; [unrolled: 18-line block ×3, first 2 shown]
	s_waitcnt vmcnt(0)
	v_lshlrev_b32_e32 v92, 16, v88
	v_and_b32_e32 v88, 0xffff0000, v88
	v_lshlrev_b32_e32 v93, 16, v89
	v_and_b32_e32 v89, 0xffff0000, v89
	v_cvt_pk_f16_f32 v88, v92, v88
	v_cvt_pk_f16_f32 v89, v93, v89
	v_lshlrev_b32_e32 v109, 16, v90
	v_and_b32_e32 v90, 0xffff0000, v90
	v_lshlrev_b32_e32 v110, 16, v91
	v_and_b32_e32 v91, 0xffff0000, v91
	v_pk_fma_f16 v101, v88, v99, v101
	v_pk_fma_f16 v100, v89, v99, v100
	v_lshl_add_u64 v[88:89], s[20:21], 0, v[54:55]
	v_cvt_pk_f16_f32 v90, v109, v90
	v_cvt_pk_f16_f32 v91, v110, v91
	v_lshl_add_u64 v[92:93], v[88:89], 0, v[62:63]
	v_pk_fma_f16 v69, v90, v99, v69
	v_pk_fma_f16 v98, v91, v99, v98
	global_load_dwordx4 v[88:91], v[92:93], off
	s_waitcnt vmcnt(0)
	v_lshlrev_b32_e32 v99, 16, v88
	v_and_b32_e32 v88, 0xffff0000, v88
	v_lshlrev_b32_e32 v109, 16, v89
	v_and_b32_e32 v89, 0xffff0000, v89
	v_lshlrev_b32_e32 v110, 16, v90
	v_and_b32_e32 v90, 0xffff0000, v90
	v_lshlrev_b32_e32 v111, 16, v91
	v_and_b32_e32 v91, 0xffff0000, v91
	v_cvt_pk_f16_f32 v88, v99, v88
	v_cvt_pk_f16_f32 v89, v109, v89
	v_cvt_pk_f16_f32 v90, v110, v90
	v_cvt_pk_f16_f32 v91, v111, v91
	v_pk_fma_f16 v99, v88, v67, v106
	v_pk_fma_f16 v102, v89, v67, v102
	v_pk_fma_f16 v87, v90, v67, v87
	v_pk_fma_f16 v103, v91, v67, v103
	global_load_dwordx4 v[88:91], v[92:93], off offset:128
	s_waitcnt vmcnt(0)
	v_lshlrev_b32_e32 v106, 16, v88
	v_and_b32_e32 v88, 0xffff0000, v88
	v_lshlrev_b32_e32 v109, 16, v89
	v_and_b32_e32 v89, 0xffff0000, v89
	v_lshlrev_b32_e32 v110, 16, v90
	v_and_b32_e32 v90, 0xffff0000, v90
	v_lshlrev_b32_e32 v111, 16, v91
	v_and_b32_e32 v91, 0xffff0000, v91
	v_cvt_pk_f16_f32 v88, v106, v88
	v_cvt_pk_f16_f32 v89, v109, v89
	v_cvt_pk_f16_f32 v90, v110, v90
	v_cvt_pk_f16_f32 v91, v111, v91
	v_pk_fma_f16 v106, v88, v67, v107
	v_pk_fma_f16 v107, v89, v67, v108
	v_pk_fma_f16 v104, v90, v67, v104
	v_pk_fma_f16 v105, v91, v67, v105
	global_load_dwordx4 v[88:91], v[92:93], off offset:256
	s_waitcnt vmcnt(0)
	v_lshlrev_b32_e32 v108, 16, v88
	v_and_b32_e32 v88, 0xffff0000, v88
	v_lshlrev_b32_e32 v109, 16, v89
	v_and_b32_e32 v89, 0xffff0000, v89
	v_lshlrev_b32_e32 v110, 16, v90
	v_and_b32_e32 v90, 0xffff0000, v90
	v_lshlrev_b32_e32 v111, 16, v91
	v_and_b32_e32 v91, 0xffff0000, v91
	v_cvt_pk_f16_f32 v88, v108, v88
	v_cvt_pk_f16_f32 v89, v109, v89
	v_cvt_pk_f16_f32 v90, v110, v90
	v_cvt_pk_f16_f32 v91, v111, v91
	v_pk_fma_f16 v97, v88, v67, v97
	v_pk_fma_f16 v96, v89, v67, v96
	v_pk_fma_f16 v95, v90, v67, v95
	v_pk_fma_f16 v94, v91, v67, v94
	global_load_dwordx4 v[88:91], v[92:93], off offset:384
	s_waitcnt vmcnt(0)
	v_lshlrev_b32_e32 v92, 16, v88
	v_and_b32_e32 v88, 0xffff0000, v88
	v_lshlrev_b32_e32 v93, 16, v89
	v_and_b32_e32 v89, 0xffff0000, v89
	;; [unrolled: 2-line block ×4, first 2 shown]
	v_cvt_pk_f16_f32 v88, v92, v88
	v_cvt_pk_f16_f32 v89, v93, v89
	;; [unrolled: 1-line block ×4, first 2 shown]
	v_pk_fma_f16 v92, v88, v67, v101
	v_pk_fma_f16 v93, v89, v67, v100
	;; [unrolled: 1-line block ×4, first 2 shown]
	v_mul_u32_u24_e32 v98, 0x10001, v68
	v_lshl_add_u64 v[68:69], s[20:21], 0, v[56:57]
	v_lshl_add_u64 v[68:69], v[68:69], 0, v[62:63]
	global_load_dwordx4 v[88:91], v[68:69], off
	s_waitcnt vmcnt(0)
	v_lshlrev_b32_e32 v101, 16, v88
	v_and_b32_e32 v88, 0xffff0000, v88
	v_lshlrev_b32_e32 v108, 16, v89
	v_and_b32_e32 v89, 0xffff0000, v89
	v_lshlrev_b32_e32 v109, 16, v90
	v_and_b32_e32 v90, 0xffff0000, v90
	v_lshlrev_b32_e32 v110, 16, v91
	v_and_b32_e32 v91, 0xffff0000, v91
	v_cvt_pk_f16_f32 v88, v101, v88
	v_cvt_pk_f16_f32 v89, v108, v89
	v_cvt_pk_f16_f32 v90, v109, v90
	v_cvt_pk_f16_f32 v91, v110, v91
	v_pk_fma_f16 v99, v88, v98, v99
	v_pk_fma_f16 v101, v89, v98, v102
	v_pk_fma_f16 v87, v90, v98, v87
	v_pk_fma_f16 v102, v91, v98, v103
	global_load_dwordx4 v[88:91], v[68:69], off offset:128
	s_waitcnt vmcnt(0)
	v_lshlrev_b32_e32 v103, 16, v88
	v_and_b32_e32 v88, 0xffff0000, v88
	v_lshlrev_b32_e32 v108, 16, v89
	v_and_b32_e32 v89, 0xffff0000, v89
	v_lshlrev_b32_e32 v109, 16, v90
	v_and_b32_e32 v90, 0xffff0000, v90
	v_lshlrev_b32_e32 v110, 16, v91
	v_and_b32_e32 v91, 0xffff0000, v91
	v_cvt_pk_f16_f32 v88, v103, v88
	v_cvt_pk_f16_f32 v89, v108, v89
	v_cvt_pk_f16_f32 v90, v109, v90
	v_cvt_pk_f16_f32 v91, v110, v91
	v_pk_fma_f16 v103, v88, v98, v106
	v_pk_fma_f16 v106, v89, v98, v107
	v_pk_fma_f16 v104, v90, v98, v104
	v_pk_fma_f16 v105, v91, v98, v105
	global_load_dwordx4 v[88:91], v[68:69], off offset:256
	;; [unrolled: 18-line block ×3, first 2 shown]
	s_waitcnt vmcnt(0)
	v_lshlrev_b32_e32 v68, 16, v88
	v_and_b32_e32 v69, 0xffff0000, v88
	v_lshlrev_b32_e32 v88, 16, v89
	v_and_b32_e32 v89, 0xffff0000, v89
	;; [unrolled: 2-line block ×4, first 2 shown]
	v_cvt_pk_f16_f32 v68, v68, v69
	v_cvt_pk_f16_f32 v69, v88, v89
	;; [unrolled: 1-line block ×4, first 2 shown]
	v_pk_fma_f16 v90, v68, v98, v92
	v_pk_fma_f16 v91, v69, v98, v93
	;; [unrolled: 1-line block ×4, first 2 shown]
	v_mul_u32_u24_e32 v98, 0x10001, v66
	v_lshl_add_u64 v[66:67], s[20:21], 0, v[58:59]
	v_lshl_add_u64 v[88:89], v[66:67], 0, v[62:63]
	global_load_dwordx4 v[66:69], v[88:89], off
	s_waitcnt vmcnt(0)
	v_lshlrev_b32_e32 v100, 16, v66
	v_and_b32_e32 v66, 0xffff0000, v66
	v_lshlrev_b32_e32 v107, 16, v67
	v_and_b32_e32 v67, 0xffff0000, v67
	v_lshlrev_b32_e32 v108, 16, v68
	v_and_b32_e32 v68, 0xffff0000, v68
	v_lshlrev_b32_e32 v109, 16, v69
	v_and_b32_e32 v69, 0xffff0000, v69
	v_cvt_pk_f16_f32 v66, v100, v66
	v_cvt_pk_f16_f32 v67, v107, v67
	v_cvt_pk_f16_f32 v68, v108, v68
	v_cvt_pk_f16_f32 v69, v109, v69
	v_pk_fma_f16 v100, v66, v98, v99
	v_pk_fma_f16 v101, v67, v98, v101
	v_pk_fma_f16 v87, v68, v98, v87
	v_pk_fma_f16 v102, v69, v98, v102
	global_load_dwordx4 v[66:69], v[88:89], off offset:128
	s_waitcnt vmcnt(0)
	v_lshlrev_b32_e32 v99, 16, v66
	v_and_b32_e32 v66, 0xffff0000, v66
	v_lshlrev_b32_e32 v107, 16, v67
	v_and_b32_e32 v67, 0xffff0000, v67
	v_lshlrev_b32_e32 v108, 16, v68
	v_and_b32_e32 v68, 0xffff0000, v68
	v_lshlrev_b32_e32 v109, 16, v69
	v_and_b32_e32 v69, 0xffff0000, v69
	v_cvt_pk_f16_f32 v66, v99, v66
	v_cvt_pk_f16_f32 v67, v107, v67
	v_cvt_pk_f16_f32 v68, v108, v68
	v_cvt_pk_f16_f32 v69, v109, v69
	v_pk_fma_f16 v103, v66, v98, v103
	v_pk_fma_f16 v106, v67, v98, v106
	v_pk_fma_f16 v104, v68, v98, v104
	v_pk_fma_f16 v105, v69, v98, v105
	global_load_dwordx4 v[66:69], v[88:89], off offset:256
	;; [unrolled: 18-line block ×3, first 2 shown]
	s_waitcnt vmcnt(0)
	v_lshlrev_b32_e32 v88, 16, v66
	v_and_b32_e32 v66, 0xffff0000, v66
	v_lshlrev_b32_e32 v89, 16, v67
	v_and_b32_e32 v67, 0xffff0000, v67
	;; [unrolled: 2-line block ×4, first 2 shown]
	v_cvt_pk_f16_f32 v66, v88, v66
	v_cvt_pk_f16_f32 v67, v89, v67
	;; [unrolled: 1-line block ×4, first 2 shown]
	v_pk_fma_f16 v107, v66, v98, v90
	v_pk_fma_f16 v108, v67, v98, v91
	v_lshl_add_u64 v[66:67], s[20:21], 0, v[60:61]
	v_pk_fma_f16 v109, v68, v98, v92
	v_pk_fma_f16 v110, v69, v98, v93
	v_lshl_add_u64 v[98:99], v[66:67], 0, v[62:63]
	global_load_dwordx4 v[66:69], v[98:99], off
	s_add_u32 s20, s20, s43
	s_addc_u32 s21, s21, 0
	s_lshl_b64 s[12:13], s[26:27], 1
	s_add_u32 s18, s18, s12
	s_addc_u32 s19, s19, s13
	s_cmp_ge_i32 s16, s42
	s_waitcnt vmcnt(0)
	v_lshlrev_b32_e32 v63, 16, v66
	v_and_b32_e32 v66, 0xffff0000, v66
	v_lshlrev_b32_e32 v88, 16, v67
	v_and_b32_e32 v67, 0xffff0000, v67
	;; [unrolled: 2-line block ×4, first 2 shown]
	v_cvt_pk_f16_f32 v63, v63, v66
	v_cvt_pk_f16_f32 v66, v88, v67
	;; [unrolled: 1-line block ×4, first 2 shown]
	v_pk_fma_f16 v89, v66, v65, v101
	v_pk_fma_f16 v87, v67, v65, v87
	;; [unrolled: 1-line block ×3, first 2 shown]
	global_load_dwordx4 v[66:69], v[98:99], off offset:128
	v_pk_fma_f16 v63, v63, v65, v100
	s_waitcnt vmcnt(0)
	v_lshlrev_b32_e32 v90, 16, v66
	v_and_b32_e32 v66, 0xffff0000, v66
	v_lshlrev_b32_e32 v91, 16, v67
	v_and_b32_e32 v67, 0xffff0000, v67
	;; [unrolled: 2-line block ×4, first 2 shown]
	v_cvt_pk_f16_f32 v66, v90, v66
	v_cvt_pk_f16_f32 v67, v91, v67
	;; [unrolled: 1-line block ×4, first 2 shown]
	v_pk_fma_f16 v93, v66, v65, v103
	v_pk_fma_f16 v92, v67, v65, v106
	;; [unrolled: 1-line block ×4, first 2 shown]
	global_load_dwordx4 v[66:69], v[98:99], off offset:256
	s_waitcnt vmcnt(0)
	v_lshlrev_b32_e32 v100, 16, v66
	v_and_b32_e32 v66, 0xffff0000, v66
	v_lshlrev_b32_e32 v101, 16, v67
	v_and_b32_e32 v67, 0xffff0000, v67
	;; [unrolled: 2-line block ×4, first 2 shown]
	v_cvt_pk_f16_f32 v66, v100, v66
	v_cvt_pk_f16_f32 v67, v101, v67
	;; [unrolled: 1-line block ×4, first 2 shown]
	v_pk_fma_f16 v97, v66, v65, v97
	v_pk_fma_f16 v96, v67, v65, v96
	;; [unrolled: 1-line block ×4, first 2 shown]
	global_load_dwordx4 v[66:69], v[98:99], off offset:384
	s_waitcnt vmcnt(0)
	v_lshlrev_b32_e32 v98, 16, v66
	v_and_b32_e32 v66, 0xffff0000, v66
	v_lshlrev_b32_e32 v99, 16, v67
	v_and_b32_e32 v67, 0xffff0000, v67
	;; [unrolled: 2-line block ×4, first 2 shown]
	v_cvt_pk_f16_f32 v66, v98, v66
	v_cvt_pk_f16_f32 v67, v99, v67
	;; [unrolled: 1-line block ×4, first 2 shown]
	v_pk_fma_f16 v101, v66, v65, v107
	v_pk_fma_f16 v100, v67, v65, v108
	;; [unrolled: 1-line block ×4, first 2 shown]
	s_cbranch_scc1 .LBB27_42
; %bb.40:                               ;   in Loop: Header=BB27_15 Depth=1
	v_mov_b32_e32 v102, v64
	s_branch .LBB27_15
.LBB27_41:
	v_mov_b32_e32 v63, 0
	v_mov_b32_e32 v64, 0xfeffffff
	v_mov_b32_e32 v87, 0
	v_mov_b32_e32 v89, 0
	v_mov_b32_e32 v93, 0
	v_mov_b32_e32 v88, 0
	v_mov_b32_e32 v91, 0
	v_mov_b32_e32 v92, 0
	v_mov_b32_e32 v97, 0
	v_mov_b32_e32 v90, 0
	v_mov_b32_e32 v95, 0
	v_mov_b32_e32 v96, 0
	v_mov_b32_e32 v101, 0
	v_mov_b32_e32 v94, 0
	v_mov_b32_e32 v99, 0
	v_mov_b32_e32 v100, 0
	v_mov_b32_e32 v98, 0
.LBB27_42:
	s_cmp_lg_u64 s[24:25], 0
	v_or_b32_e32 v0, s3, v70
	s_cselect_b64 s[4:5], -1, 0
	v_cmp_eq_u32_e32 vcc, 0, v0
	s_and_b64 s[6:7], vcc, s[4:5]
	s_and_saveexec_b64 s[4:5], s[6:7]
	s_cbranch_execz .LBB27_44
; %bb.43:
	s_lshl_b64 s[6:7], s[40:41], 2
	s_add_u32 s6, s24, s6
	s_addc_u32 s7, s25, s7
	s_load_dword s6, s[6:7], 0x0
	v_max_f32_e32 v0, v64, v64
	s_mov_b32 s7, 0x3fb8aa3b
	s_mov_b32 s8, 0x42b17218
	s_waitcnt lgkmcnt(0)
	v_max_f32_e64 v1, s6, s6
	v_max_f32_e32 v0, v0, v1
	v_sub_f32_e32 v1, s6, v0
	v_mul_f32_e32 v2, 0x3fb8aa3b, v1
	v_fma_f32 v3, v1, s7, -v2
	v_rndne_f32_e32 v4, v2
	v_fmac_f32_e32 v3, 0x32a5705f, v1
	v_sub_f32_e32 v2, v2, v4
	v_add_f32_e32 v2, v2, v3
	v_cvt_i32_f32_e32 v3, v4
	v_exp_f32_e32 v2, v2
	s_mov_b32 s6, 0xc2ce8ed0
	v_cmp_ngt_f32_e32 vcc, s6, v1
	v_ldexp_f32 v2, v2, v3
	v_sub_f32_e32 v3, v64, v0
	v_mul_f32_e32 v4, 0x3fb8aa3b, v3
	v_fma_f32 v5, v3, s7, -v4
	v_rndne_f32_e32 v6, v4
	v_fmac_f32_e32 v5, 0x32a5705f, v3
	v_sub_f32_e32 v4, v4, v6
	v_add_f32_e32 v4, v4, v5
	v_exp_f32_e32 v4, v4
	v_cvt_i32_f32_e32 v5, v6
	v_cndmask_b32_e32 v2, 0, v2, vcc
	v_mov_b32_e32 v6, 0x7f800000
	v_cmp_nlt_f32_e32 vcc, s8, v1
	v_mov_b32_e32 v64, v0
	s_nop 0
	v_cndmask_b32_e32 v1, v6, v2, vcc
	v_ldexp_f32 v2, v4, v5
	v_cmp_ngt_f32_e32 vcc, s6, v3
	s_nop 1
	v_cndmask_b32_e32 v2, 0, v2, vcc
	v_cmp_nlt_f32_e32 vcc, s8, v3
	s_nop 1
	v_cndmask_b32_e32 v2, v6, v2, vcc
	v_cvt_f16_f32_e32 v3, v2
	v_cmp_eq_u32_e32 vcc, 0, v71
	s_nop 1
	v_cndmask_b32_e32 v1, 0, v1, vcc
	v_fmac_f32_e32 v1, v76, v2
	v_mul_u32_u24_e32 v2, 0x10001, v3
	v_pk_mul_f16 v63, v63, v2
	v_pk_mul_f16 v89, v89, v2
	;; [unrolled: 1-line block ×16, first 2 shown]
	v_mov_b32_e32 v76, v1
.LBB27_44:
	s_or_b64 exec, exec, s[4:5]
	s_and_saveexec_b64 s[4:5], s[14:15]
; %bb.45:
	v_mov_b32_e32 v0, 0xfeffffff
	v_mov_b32_e32 v1, 0
	v_add_u32_e32 v2, 0x2000, v75
	ds_write2_b32 v2, v0, v1 offset1:32
; %bb.46:
	s_or_b64 exec, exec, s[4:5]
	v_cmp_eq_u32_e32 vcc, 0, v71
	v_lshlrev_b32_e32 v6, 2, v70
	s_waitcnt lgkmcnt(0)
	s_barrier
	s_and_saveexec_b64 s[4:5], vcc
; %bb.47:
	ds_write_b32 v6, v64 offset:8192
; %bb.48:
	s_or_b64 exec, exec, s[4:5]
	v_mbcnt_hi_u32_b32 v0, -1, v72
	s_waitcnt lgkmcnt(0)
	s_barrier
	v_and_b32_e32 v1, 0x60, v0
	ds_read_b32 v3, v75 offset:8192
	v_add_u32_e32 v5, 32, v1
	v_xor_b32_e32 v1, 16, v0
	v_cmp_lt_i32_e64 s[4:5], v1, v5
	v_xor_b32_e32 v2, 8, v0
	v_xor_b32_e32 v9, 1, v0
	v_cndmask_b32_e64 v1, v0, v1, s[4:5]
	v_lshlrev_b32_e32 v1, 2, v1
	s_waitcnt lgkmcnt(0)
	ds_bpermute_b32 v4, v1, v3
	v_cmp_lt_i32_e64 s[4:5], v2, v5
	v_max_f32_e32 v3, v3, v3
	s_load_dword s6, s[0:1], 0xd4
	v_cndmask_b32_e64 v2, v0, v2, s[4:5]
	s_waitcnt lgkmcnt(0)
	v_max_f32_e32 v4, v4, v4
	v_lshlrev_b32_e32 v2, 2, v2
	v_max_f32_e32 v4, v3, v4
	ds_bpermute_b32 v7, v2, v4
	v_xor_b32_e32 v3, 4, v0
	v_cmp_lt_i32_e64 s[4:5], v3, v5
	s_waitcnt lgkmcnt(0)
	v_max_f32_e32 v7, v7, v7
	v_cndmask_b32_e64 v3, v0, v3, s[4:5]
	v_lshlrev_b32_e32 v3, 2, v3
	v_max_f32_e32 v7, v4, v7
	ds_bpermute_b32 v8, v3, v7
	v_xor_b32_e32 v4, 2, v0
	v_cmp_lt_i32_e64 s[4:5], v4, v5
	s_waitcnt lgkmcnt(0)
	v_max_f32_e32 v8, v8, v8
	v_cndmask_b32_e64 v4, v0, v4, s[4:5]
	v_lshlrev_b32_e32 v4, 2, v4
	v_max_f32_e32 v7, v7, v8
	ds_bpermute_b32 v8, v4, v7
	v_cmp_lt_i32_e64 s[4:5], v9, v5
	s_nop 1
	v_cndmask_b32_e64 v0, v0, v9, s[4:5]
	v_lshlrev_b32_e32 v5, 2, v0
	s_waitcnt lgkmcnt(0)
	v_max_f32_e32 v0, v8, v8
	v_max_f32_e32 v0, v7, v0
	ds_bpermute_b32 v7, v5, v0
	s_mov_b32 s4, 0x3fb8aa3b
	s_waitcnt lgkmcnt(0)
	v_max_f32_e32 v7, v7, v7
	v_max_f32_e32 v0, v0, v7
	v_sub_f32_e32 v7, v64, v0
	v_mul_f32_e32 v8, 0x3fb8aa3b, v7
	v_fma_f32 v9, v7, s4, -v8
	v_rndne_f32_e32 v10, v8
	v_fmamk_f32 v9, v7, 0x32a5705f, v9
	v_sub_f32_e32 v8, v8, v10
	v_add_f32_e32 v8, v8, v9
	v_exp_f32_e32 v8, v8
	v_cvt_i32_f32_e32 v9, v10
	s_mov_b32 s4, 0xc2ce8ed0
	v_cmp_ngt_f32_e64 s[4:5], s4, v7
	v_ldexp_f32 v8, v8, v9
	s_nop 0
	v_cndmask_b32_e64 v8, 0, v8, s[4:5]
	s_mov_b32 s4, 0x42b17218
	v_mov_b32_e32 v9, 0x7f800000
	v_cmp_nlt_f32_e64 s[4:5], s4, v7
	s_nop 1
	v_cndmask_b32_e64 v7, v9, v8, s[4:5]
	v_mul_f32_e32 v20, v76, v7
	ds_bpermute_b32 v20, v1, v20
	v_cvt_f16_f32_e32 v8, v7
	s_add_u32 s4, s0, 0xd0
	s_movk_i32 s0, 0x70
	s_addc_u32 s5, s1, 0
	s_waitcnt lgkmcnt(0)
	v_fmac_f32_e32 v20, v76, v7
	ds_bpermute_b32 v7, v2, v20
	v_mul_u32_u24_e32 v8, 0x10001, v8
	v_pk_mul_f16 v9, v63, v8
	v_pk_mul_f16 v10, v89, v8
	;; [unrolled: 1-line block ×3, first 2 shown]
	s_waitcnt lgkmcnt(0)
	v_add_f32_e32 v7, v20, v7
	ds_bpermute_b32 v20, v3, v7
	v_pk_mul_f16 v12, v88, v8
	v_pk_mul_f16 v13, v93, v8
	;; [unrolled: 1-line block ×13, first 2 shown]
	v_lshlrev_b32_e32 v8, 6, v71
	v_and_b32_e32 v8, 0x1e00, v8
	v_lshl_add_u32 v8, v70, 11, v8
	s_waitcnt lgkmcnt(0)
	v_add_f32_e32 v7, v7, v20
	v_and_or_b32 v16, v16, s0, v8
	ds_bpermute_b32 v8, v4, v7
	ds_write2_b32 v16, v10, v11 offset0:1 offset1:2
	ds_write2_b32 v16, v9, v12 offset1:3
	ds_write2_b32 v16, v14, v15 offset0:33 offset1:34
	ds_write2_b32 v16, v13, v18 offset0:32 offset1:35
	;; [unrolled: 1-line block ×6, first 2 shown]
	s_waitcnt lgkmcnt(8)
	v_add_f32_e32 v7, v7, v8
	ds_bpermute_b32 v8, v5, v7
	s_and_saveexec_b64 s[0:1], vcc
	s_cbranch_execz .LBB27_50
; %bb.49:
	s_waitcnt lgkmcnt(0)
	v_add_f32_e32 v7, v7, v8
	ds_write_b32 v6, v7 offset:8320
.LBB27_50:
	s_or_b64 exec, exec, s[0:1]
	s_waitcnt lgkmcnt(0)
	s_barrier
	ds_read_b32 v6, v75 offset:8320
	ds_read_u16 v7, v73
	ds_read_u16 v8, v73 offset:1280
	ds_read_u16 v9, v73 offset:768
	;; [unrolled: 1-line block ×3, first 2 shown]
	s_waitcnt lgkmcnt(4)
	ds_bpermute_b32 v1, v1, v6
	s_mul_i32 s0, s33, s34
	s_add_i32 s0, s0, s2
	s_mul_i32 s2, s0, s35
	s_add_i32 s2, s2, s40
	s_waitcnt lgkmcnt(0)
	v_add_f32_e32 v1, v6, v1
	ds_bpermute_b32 v2, v2, v1
	ds_read_u16 v6, v73 offset:512
	ds_read_u16 v11, v73 offset:1024
	;; [unrolled: 1-line block ×3, first 2 shown]
	s_mul_i32 s0, s6, s2
	s_add_i32 s7, s0, s3
	s_cmp_eq_u32 s6, 1
	s_waitcnt lgkmcnt(3)
	v_add_f32_e32 v1, v1, v2
	ds_bpermute_b32 v2, v3, v1
	v_cvt_f32_f16_e32 v3, v7
	s_waitcnt lgkmcnt(1)
	v_cvt_f32_f16_e32 v7, v12
	v_cvt_f32_f16_e32 v10, v10
	;; [unrolled: 1-line block ×3, first 2 shown]
	s_waitcnt lgkmcnt(0)
	v_add_f32_e32 v1, v1, v2
	ds_bpermute_b32 v2, v4, v1
	v_cvt_f32_f16_e32 v4, v6
	v_cvt_f32_f16_e32 v6, v11
	v_add_f32_e32 v3, 0, v3
	s_waitcnt lgkmcnt(0)
	v_add_f32_e32 v1, v1, v2
	ds_bpermute_b32 v2, v5, v1
	v_add_f32_e32 v3, v3, v4
	v_add_f32_e32 v3, v3, v6
	s_waitcnt lgkmcnt(0)
	v_add_f32_e32 v1, v1, v2
	v_add_f32_e32 v2, v3, v7
	ds_read_u16 v3, v73 offset:2048
	ds_read_u16 v4, v73 offset:2560
	ds_read_u16 v5, v73 offset:3072
	ds_read_u16 v6, v73 offset:3584
	ds_read_u16 v7, v73 offset:3328
	ds_read_u16 v11, v73 offset:2816
	ds_read_u16 v12, v73 offset:2304
	ds_read_u16 v13, v73 offset:1792
	s_waitcnt lgkmcnt(7)
	v_cvt_f32_f16_e32 v3, v3
	s_waitcnt lgkmcnt(6)
	v_cvt_f32_f16_e32 v4, v4
	s_waitcnt lgkmcnt(5)
	v_cvt_f32_f16_e32 v5, v5
	s_waitcnt lgkmcnt(4)
	v_cvt_f32_f16_e32 v6, v6
	v_add_f32_e32 v2, v2, v3
	v_add_f32_e32 v2, v2, v4
	v_add_f32_e32 v2, v2, v5
	v_add_f32_e32 v2, v2, v6
	ds_read_u16 v3, v73 offset:4096
	ds_read_u16 v4, v73 offset:4608
	ds_read_u16 v5, v73 offset:5120
	ds_read_u16 v6, v73 offset:5632
	ds_read_u16 v14, v73 offset:5376
	ds_read_u16 v15, v73 offset:4864
	ds_read_u16 v16, v73 offset:4352
	ds_read_u16 v18, v73 offset:3840
	s_waitcnt lgkmcnt(7)
	v_cvt_f32_f16_e32 v3, v3
	s_waitcnt lgkmcnt(6)
	v_cvt_f32_f16_e32 v4, v4
	s_waitcnt lgkmcnt(5)
	v_cvt_f32_f16_e32 v5, v5
	s_waitcnt lgkmcnt(4)
	v_cvt_f32_f16_e32 v6, v6
	v_add_f32_e32 v2, v2, v3
	v_add_f32_e32 v2, v2, v4
	;; [unrolled: 20-line block ×3, first 2 shown]
	v_add_f32_e32 v2, v2, v5
	v_add_f32_e32 v3, v2, v6
	v_div_scale_f32 v6, s[0:1], v1, v1, v3
	v_rcp_f32_e32 v23, v6
	s_cselect_b64 s[0:1], -1, 0
	v_cvt_f32_f16_e32 v7, v7
	v_lshl_or_b32 v2, s7, 8, v17
	v_fma_f32 v24, -v6, v23, 1.0
	v_fmac_f32_e32 v23, v24, v23
	v_div_scale_f32 v24, vcc, v3, v1, v3
	v_mul_f32_e32 v25, v24, v23
	v_fma_f32 v26, -v6, v25, v24
	v_fmac_f32_e32 v25, v26, v23
	v_fma_f32 v6, -v6, v25, v24
	v_div_fmas_f32 v6, v6, v23, v25
	v_div_fixup_f32 v6, v6, v1, v3
	v_cndmask_b32_e64 v6, v3, v6, s[0:1]
	v_cvt_f32_f16_e32 v3, v9
	v_add_f32_e32 v9, 0, v10
	v_cvt_f32_f16_e32 v10, v13
	v_mov_b32_e32 v4, s28
	v_add_f32_e32 v3, v9, v3
	v_add_f32_e32 v3, v3, v8
	v_cvt_f32_f16_e32 v8, v12
	v_cvt_f32_f16_e32 v9, v11
	v_add_f32_e32 v3, v3, v10
	s_waitcnt lgkmcnt(3)
	v_cvt_f32_f16_e32 v10, v19
	v_add_f32_e32 v3, v3, v8
	v_cvt_f32_f16_e32 v8, v18
	v_add_f32_e32 v3, v3, v9
	v_add_f32_e32 v3, v3, v7
	v_cvt_f32_f16_e32 v7, v16
	v_add_f32_e32 v3, v3, v8
	v_cvt_f32_f16_e32 v8, v15
	v_cvt_f32_f16_e32 v9, v14
	v_add_f32_e32 v3, v3, v7
	s_waitcnt lgkmcnt(0)
	v_cvt_f32_f16_e32 v7, v22
	v_add_f32_e32 v3, v3, v8
	ds_read_u16 v8, v73 offset:7936
	v_add_f32_e32 v3, v3, v9
	v_add_f32_e32 v3, v3, v7
	v_cvt_f32_f16_e32 v7, v21
	v_cvt_f32_f16_e32 v9, v20
	s_waitcnt lgkmcnt(0)
	v_cvt_f32_f16_e32 v8, v8
	v_mov_b32_e32 v5, s29
	v_add_f32_e32 v3, v3, v7
	v_add_f32_e32 v3, v3, v9
	;; [unrolled: 1-line block ×4, first 2 shown]
	v_div_scale_f32 v8, s[6:7], v1, v1, v7
	v_rcp_f32_e32 v9, v8
	v_mov_b32_e32 v3, 0
	v_lshl_add_u64 v[4:5], v[2:3], 2, v[4:5]
	global_store_dword v[4:5], v6, off
	v_fma_f32 v2, -v8, v9, 1.0
	v_fmac_f32_e32 v9, v2, v9
	v_div_scale_f32 v2, vcc, v7, v1, v7
	v_mul_f32_e32 v6, v2, v9
	v_fma_f32 v10, -v8, v6, v2
	v_fmac_f32_e32 v6, v10, v9
	v_fma_f32 v2, -v8, v6, v2
	v_div_fmas_f32 v2, v2, v9, v6
	v_div_fixup_f32 v2, v2, v1, v7
	v_cndmask_b32_e64 v2, v7, v2, s[0:1]
	global_store_dword v[4:5], v2, off offset:512
	s_load_dword s0, s[4:5], 0x4
	v_cmp_eq_u32_e32 vcc, 0, v17
	s_waitcnt lgkmcnt(0)
	s_cmp_lg_u32 s0, 1
	s_cselect_b64 s[4:5], -1, 0
	s_and_b64 s[4:5], vcc, s[4:5]
	s_and_saveexec_b64 s[6:7], s[4:5]
	s_cbranch_execz .LBB27_52
; %bb.51:
	s_mul_i32 s0, s0, s2
	s_add_i32 s0, s0, s3
	s_mov_b32 s1, 0
	s_lshl_b64 s[0:1], s[0:1], 3
	s_add_u32 s0, s30, s0
	s_addc_u32 s1, s31, s1
	global_store_dwordx2 v3, v[0:1], s[0:1]
.LBB27_52:
	s_endpgm
	.section	.rodata,"a",@progbits
	.p2align	6, 0x0
	.amdhsa_kernel _ZL18flash_attn_ext_vecILi256ELi1EL9ggml_type3ELS0_30ELb1EEvPKcS2_S2_S2_S2_PKiPfP15HIP_vector_typeIfLj2EEffffjfiS6_IjLj3EEiiiiiiiiiiiliiliiiiil
		.amdhsa_group_segment_fixed_size 8448
		.amdhsa_private_segment_fixed_size 0
		.amdhsa_kernarg_size 464
		.amdhsa_user_sgpr_count 2
		.amdhsa_user_sgpr_dispatch_ptr 0
		.amdhsa_user_sgpr_queue_ptr 0
		.amdhsa_user_sgpr_kernarg_segment_ptr 1
		.amdhsa_user_sgpr_dispatch_id 0
		.amdhsa_user_sgpr_kernarg_preload_length 0
		.amdhsa_user_sgpr_kernarg_preload_offset 0
		.amdhsa_user_sgpr_private_segment_size 0
		.amdhsa_uses_dynamic_stack 0
		.amdhsa_enable_private_segment 0
		.amdhsa_system_sgpr_workgroup_id_x 1
		.amdhsa_system_sgpr_workgroup_id_y 1
		.amdhsa_system_sgpr_workgroup_id_z 1
		.amdhsa_system_sgpr_workgroup_info 0
		.amdhsa_system_vgpr_workitem_id 1
		.amdhsa_next_free_vgpr 115
		.amdhsa_next_free_sgpr 56
		.amdhsa_accum_offset 116
		.amdhsa_reserve_vcc 1
		.amdhsa_float_round_mode_32 0
		.amdhsa_float_round_mode_16_64 0
		.amdhsa_float_denorm_mode_32 3
		.amdhsa_float_denorm_mode_16_64 3
		.amdhsa_dx10_clamp 1
		.amdhsa_ieee_mode 1
		.amdhsa_fp16_overflow 0
		.amdhsa_tg_split 0
		.amdhsa_exception_fp_ieee_invalid_op 0
		.amdhsa_exception_fp_denorm_src 0
		.amdhsa_exception_fp_ieee_div_zero 0
		.amdhsa_exception_fp_ieee_overflow 0
		.amdhsa_exception_fp_ieee_underflow 0
		.amdhsa_exception_fp_ieee_inexact 0
		.amdhsa_exception_int_div_zero 0
	.end_amdhsa_kernel
	.section	.text._ZL18flash_attn_ext_vecILi256ELi1EL9ggml_type3ELS0_30ELb1EEvPKcS2_S2_S2_S2_PKiPfP15HIP_vector_typeIfLj2EEffffjfiS6_IjLj3EEiiiiiiiiiiiliiliiiiil,"axG",@progbits,_ZL18flash_attn_ext_vecILi256ELi1EL9ggml_type3ELS0_30ELb1EEvPKcS2_S2_S2_S2_PKiPfP15HIP_vector_typeIfLj2EEffffjfiS6_IjLj3EEiiiiiiiiiiiliiliiiiil,comdat
.Lfunc_end27:
	.size	_ZL18flash_attn_ext_vecILi256ELi1EL9ggml_type3ELS0_30ELb1EEvPKcS2_S2_S2_S2_PKiPfP15HIP_vector_typeIfLj2EEffffjfiS6_IjLj3EEiiiiiiiiiiiliiliiiiil, .Lfunc_end27-_ZL18flash_attn_ext_vecILi256ELi1EL9ggml_type3ELS0_30ELb1EEvPKcS2_S2_S2_S2_PKiPfP15HIP_vector_typeIfLj2EEffffjfiS6_IjLj3EEiiiiiiiiiiiliiliiiiil
                                        ; -- End function
	.set _ZL18flash_attn_ext_vecILi256ELi1EL9ggml_type3ELS0_30ELb1EEvPKcS2_S2_S2_S2_PKiPfP15HIP_vector_typeIfLj2EEffffjfiS6_IjLj3EEiiiiiiiiiiiliiliiiiil.num_vgpr, 115
	.set _ZL18flash_attn_ext_vecILi256ELi1EL9ggml_type3ELS0_30ELb1EEvPKcS2_S2_S2_S2_PKiPfP15HIP_vector_typeIfLj2EEffffjfiS6_IjLj3EEiiiiiiiiiiiliiliiiiil.num_agpr, 0
	.set _ZL18flash_attn_ext_vecILi256ELi1EL9ggml_type3ELS0_30ELb1EEvPKcS2_S2_S2_S2_PKiPfP15HIP_vector_typeIfLj2EEffffjfiS6_IjLj3EEiiiiiiiiiiiliiliiiiil.numbered_sgpr, 56
	.set _ZL18flash_attn_ext_vecILi256ELi1EL9ggml_type3ELS0_30ELb1EEvPKcS2_S2_S2_S2_PKiPfP15HIP_vector_typeIfLj2EEffffjfiS6_IjLj3EEiiiiiiiiiiiliiliiiiil.num_named_barrier, 0
	.set _ZL18flash_attn_ext_vecILi256ELi1EL9ggml_type3ELS0_30ELb1EEvPKcS2_S2_S2_S2_PKiPfP15HIP_vector_typeIfLj2EEffffjfiS6_IjLj3EEiiiiiiiiiiiliiliiiiil.private_seg_size, 0
	.set _ZL18flash_attn_ext_vecILi256ELi1EL9ggml_type3ELS0_30ELb1EEvPKcS2_S2_S2_S2_PKiPfP15HIP_vector_typeIfLj2EEffffjfiS6_IjLj3EEiiiiiiiiiiiliiliiiiil.uses_vcc, 1
	.set _ZL18flash_attn_ext_vecILi256ELi1EL9ggml_type3ELS0_30ELb1EEvPKcS2_S2_S2_S2_PKiPfP15HIP_vector_typeIfLj2EEffffjfiS6_IjLj3EEiiiiiiiiiiiliiliiiiil.uses_flat_scratch, 0
	.set _ZL18flash_attn_ext_vecILi256ELi1EL9ggml_type3ELS0_30ELb1EEvPKcS2_S2_S2_S2_PKiPfP15HIP_vector_typeIfLj2EEffffjfiS6_IjLj3EEiiiiiiiiiiiliiliiiiil.has_dyn_sized_stack, 0
	.set _ZL18flash_attn_ext_vecILi256ELi1EL9ggml_type3ELS0_30ELb1EEvPKcS2_S2_S2_S2_PKiPfP15HIP_vector_typeIfLj2EEffffjfiS6_IjLj3EEiiiiiiiiiiiliiliiiiil.has_recursion, 0
	.set _ZL18flash_attn_ext_vecILi256ELi1EL9ggml_type3ELS0_30ELb1EEvPKcS2_S2_S2_S2_PKiPfP15HIP_vector_typeIfLj2EEffffjfiS6_IjLj3EEiiiiiiiiiiiliiliiiiil.has_indirect_call, 0
	.section	.AMDGPU.csdata,"",@progbits
; Kernel info:
; codeLenInByte = 16204
; TotalNumSgprs: 62
; NumVgprs: 115
; NumAgprs: 0
; TotalNumVgprs: 115
; ScratchSize: 0
; MemoryBound: 0
; FloatMode: 240
; IeeeMode: 1
; LDSByteSize: 8448 bytes/workgroup (compile time only)
; SGPRBlocks: 7
; VGPRBlocks: 14
; NumSGPRsForWavesPerEU: 62
; NumVGPRsForWavesPerEU: 115
; AccumOffset: 116
; Occupancy: 4
; WaveLimiterHint : 1
; COMPUTE_PGM_RSRC2:SCRATCH_EN: 0
; COMPUTE_PGM_RSRC2:USER_SGPR: 2
; COMPUTE_PGM_RSRC2:TRAP_HANDLER: 0
; COMPUTE_PGM_RSRC2:TGID_X_EN: 1
; COMPUTE_PGM_RSRC2:TGID_Y_EN: 1
; COMPUTE_PGM_RSRC2:TGID_Z_EN: 1
; COMPUTE_PGM_RSRC2:TIDIG_COMP_CNT: 1
; COMPUTE_PGM_RSRC3_GFX90A:ACCUM_OFFSET: 28
; COMPUTE_PGM_RSRC3_GFX90A:TG_SPLIT: 0
	.section	.text._ZL18flash_attn_ext_vecILi256ELi2EL9ggml_type3ELS0_30ELb0EEvPKcS2_S2_S2_S2_PKiPfP15HIP_vector_typeIfLj2EEffffjfiS6_IjLj3EEiiiiiiiiiiiliiliiiiil,"axG",@progbits,_ZL18flash_attn_ext_vecILi256ELi2EL9ggml_type3ELS0_30ELb0EEvPKcS2_S2_S2_S2_PKiPfP15HIP_vector_typeIfLj2EEffffjfiS6_IjLj3EEiiiiiiiiiiiliiliiiiil,comdat
	.globl	_ZL18flash_attn_ext_vecILi256ELi2EL9ggml_type3ELS0_30ELb0EEvPKcS2_S2_S2_S2_PKiPfP15HIP_vector_typeIfLj2EEffffjfiS6_IjLj3EEiiiiiiiiiiiliiliiiiil ; -- Begin function _ZL18flash_attn_ext_vecILi256ELi2EL9ggml_type3ELS0_30ELb0EEvPKcS2_S2_S2_S2_PKiPfP15HIP_vector_typeIfLj2EEffffjfiS6_IjLj3EEiiiiiiiiiiiliiliiiiil
	.p2align	8
	.type	_ZL18flash_attn_ext_vecILi256ELi2EL9ggml_type3ELS0_30ELb0EEvPKcS2_S2_S2_S2_PKiPfP15HIP_vector_typeIfLj2EEffffjfiS6_IjLj3EEiiiiiiiiiiiliiliiiiil,@function
_ZL18flash_attn_ext_vecILi256ELi2EL9ggml_type3ELS0_30ELb0EEvPKcS2_S2_S2_S2_PKiPfP15HIP_vector_typeIfLj2EEffffjfiS6_IjLj3EEiiiiiiiiiiiliiliiiiil: ; @_ZL18flash_attn_ext_vecILi256ELi2EL9ggml_type3ELS0_30ELb0EEvPKcS2_S2_S2_S2_PKiPfP15HIP_vector_typeIfLj2EEffffjfiS6_IjLj3EEiiiiiiiiiiiliiliiiiil
; %bb.0:
	s_load_dwordx2 s[18:19], s[0:1], 0x64
	s_load_dwordx2 s[52:53], s[0:1], 0x80
	;; [unrolled: 1-line block ×3, first 2 shown]
	v_mov_b32_e32 v127, 1.0
	s_waitcnt lgkmcnt(0)
	v_cvt_f32_u32_e32 v1, s19
	s_sub_i32 s5, 0, s19
	v_rcp_iflag_f32_e32 v1, v1
	s_nop 0
	v_mul_f32_e32 v1, 0x4f7ffffe, v1
	v_cvt_u32_f32_e32 v1, v1
	s_nop 0
	v_readfirstlane_b32 s6, v1
	s_mul_i32 s5, s5, s6
	s_mul_hi_u32 s5, s6, s5
	s_add_i32 s6, s6, s5
	s_mul_hi_u32 s5, s4, s6
	s_mul_i32 s6, s5, s19
	s_sub_i32 s6, s4, s6
	s_add_i32 s7, s5, 1
	s_sub_i32 s8, s6, s19
	s_cmp_ge_u32 s6, s19
	s_cselect_b32 s5, s7, s5
	s_cselect_b32 s6, s8, s6
	s_add_i32 s7, s5, 1
	s_cmp_ge_u32 s6, s19
	s_cselect_b32 s54, s7, s5
	s_abs_i32 s5, s53
	v_cvt_f32_u32_e32 v1, s5
	s_mul_i32 s12, s54, s19
	s_sub_i32 s13, 0, s5
	s_sub_i32 s20, s4, s12
	v_rcp_iflag_f32_e32 v1, v1
	s_abs_i32 s7, s19
	s_xor_b32 s6, s19, s53
	s_ashr_i32 s6, s6, 31
	v_mul_f32_e32 v1, 0x4f7ffffe, v1
	v_cvt_u32_f32_e32 v1, v1
	s_load_dwordx4 s[8:11], s[0:1], 0x40
	v_readfirstlane_b32 s4, v1
	s_mul_i32 s13, s13, s4
	s_mul_hi_u32 s12, s4, s13
	s_add_i32 s4, s4, s12
	s_mul_hi_u32 s4, s7, s4
	s_mul_i32 s12, s4, s5
	s_sub_i32 s7, s7, s12
	s_add_i32 s13, s4, 1
	s_sub_i32 s12, s7, s5
	s_cmp_ge_u32 s7, s5
	s_cselect_b32 s4, s13, s4
	s_cselect_b32 s7, s12, s7
	s_add_i32 s12, s4, 1
	s_cmp_ge_u32 s7, s5
	s_cselect_b32 s4, s12, s4
	s_xor_b32 s4, s4, s6
	s_sub_i32 s27, s4, s6
	s_abs_i32 s24, s22
	s_abs_i32 s26, s27
	v_cvt_f32_u32_e32 v1, s24
	v_cvt_f32_u32_e32 v2, s26
	s_load_dword s4, s[0:1], 0x50
	s_waitcnt lgkmcnt(0)
	v_cmp_le_f32_e64 s[6:7], s9, 0
	v_rcp_iflag_f32_e32 v1, v1
	v_rcp_iflag_f32_e32 v2, v2
	s_mov_b32 s12, s8
	s_mov_b32 s13, s9
	v_mul_f32_e32 v1, 0x4f7ffffe, v1
	v_mul_f32_e32 v2, 0x4f7ffffe, v2
	v_cvt_u32_f32_e32 v1, v1
	v_cvt_u32_f32_e32 v2, v2
	s_and_b64 vcc, exec, s[6:7]
	v_readfirstlane_b32 s14, v1
	v_readfirstlane_b32 s15, v2
	s_cbranch_vccnz .LBB28_2
; %bb.1:
	v_mov_b32_e32 v1, s4
	v_sub_co_u32_e32 v1, vcc, s20, v1
	v_mov_b32_e32 v2, s11
	v_mov_b32_e32 v3, s10
	s_add_i32 s4, s20, 1
	v_lshlrev_b32_e32 v1, 1, v1
	v_cndmask_b32_e32 v2, v2, v3, vcc
	v_or_b32_e32 v1, 1, v1
	v_mov_b32_e32 v3, s4
	v_cndmask_b32_e32 v1, v1, v3, vcc
	v_cvt_f32_i32_e32 v1, v1
	v_cmp_neq_f32_e32 vcc, 1.0, v2
	s_mov_b32 s4, 0x3f2aaaab
	s_movk_i32 s6, 0x204
	v_cndmask_b32_e32 v1, 1.0, v1, vcc
	v_cmp_neq_f32_e32 vcc, 0, v1
	s_mov_b32 s5, 0x42b17218
	s_mov_b32 s7, 0x3fb8aa3b
	v_cndmask_b32_e32 v18, 1.0, v2, vcc
	v_frexp_mant_f32_e64 v2, |v18|
	v_cmp_gt_f32_e32 vcc, s4, v2
	s_mov_b32 s4, 0x3f317218
	s_brev_b32 s9, -2
	v_cndmask_b32_e64 v3, 1.0, 2.0, vcc
	v_mul_f32_e32 v2, v2, v3
	v_add_f32_e32 v5, 1.0, v2
	v_rcp_f32_e32 v10, v5
	v_add_f32_e32 v3, -1.0, v5
	v_sub_f32_e32 v7, v2, v3
	v_add_f32_e32 v3, -1.0, v2
	v_mul_f32_e32 v11, v3, v10
	v_mul_f32_e32 v4, v5, v11
	v_fma_f32 v6, v11, v5, -v4
	v_fmac_f32_e32 v6, v11, v7
	v_add_f32_e32 v2, v4, v6
	v_sub_f32_e32 v5, v3, v2
	v_pk_add_f32 v[8:9], v[2:3], v[4:5] neg_lo:[0,1] neg_hi:[0,1]
	v_mov_b32_e32 v7, v2
	v_pk_add_f32 v[2:3], v[8:9], v[6:7] neg_lo:[0,1] neg_hi:[0,1]
	v_mov_b32_e32 v6, 0x3e91f4c4
	v_add_f32_e32 v2, v2, v3
	v_add_f32_e32 v2, v5, v2
	v_mul_f32_e32 v3, v10, v2
	v_add_f32_e32 v2, v11, v3
	v_sub_f32_e32 v4, v2, v11
	v_sub_f32_e32 v12, v3, v4
	v_mul_f32_e32 v3, v2, v2
	v_fma_f32 v5, v2, v2, -v3
	v_add_f32_e32 v4, v12, v12
	v_fmac_f32_e32 v5, v2, v4
	v_add_f32_e32 v4, v3, v5
	v_fmac_f32_e32 v6, 0x3e76c4e1, v4
	v_fmaak_f32 v6, v4, v6, 0x3ecccdef
	v_sub_f32_e32 v3, v4, v3
	v_sub_f32_e32 v13, v5, v3
	v_mul_f32_e32 v3, v4, v6
	v_fma_f32 v5, v4, v6, -v3
	v_fmac_f32_e32 v5, v13, v6
	v_add_f32_e32 v6, v3, v5
	v_add_f32_e32 v7, 0x3f2aaaaa, v6
	v_sub_f32_e32 v3, v6, v3
	v_sub_f32_e32 v3, v5, v3
	v_add_f32_e32 v5, 0xbf2aaaaa, v7
	v_add_f32_e32 v3, 0x31739010, v3
	v_sub_f32_e32 v5, v6, v5
	v_pk_mul_f32 v[8:9], v[2:3], v[4:5]
	v_pk_add_f32 v[10:11], v[2:3], v[4:5]
	v_fma_f32 v6, v4, v2, -v8
	v_fmac_f32_e32 v6, v4, v12
	v_mov_b32_e32 v9, v11
	v_fmac_f32_e32 v6, v13, v2
	v_pk_add_f32 v[4:5], v[8:9], v[6:7]
	v_ldexp_f32 v14, v12, 1
	v_sub_f32_e32 v3, v4, v8
	v_sub_f32_e32 v3, v6, v3
	;; [unrolled: 1-line block ×3, first 2 shown]
	v_add_f32_e32 v9, v11, v6
	v_pk_mul_f32 v[6:7], v[4:5], v[4:5] op_sel:[0,1] op_sel_hi:[1,0]
	v_cvt_f64_f32_e64 v[10:11], |v18|
	v_frexp_exp_i32_f64_e32 v7, v[10:11]
	v_subbrev_co_u32_e32 v7, vcc, 0, v7, vcc
	v_cvt_f32_i32_e32 v7, v7
	v_fma_f32 v8, v4, v5, -v6
	v_fmac_f32_e32 v8, v4, v9
	v_fmac_f32_e32 v8, v3, v5
	v_mul_f32_e32 v4, 0x3f317218, v7
	v_fma_f32 v3, v7, s4, -v4
	v_fmamk_f32 v10, v7, 0xb102e308, v3
	v_ldexp_f32 v11, v2, 1
	v_add_f32_e32 v5, v6, v8
	v_pk_add_f32 v[2:3], v[4:5], v[10:11]
	v_mov_b32_e32 v12, v5
	v_mov_b32_e32 v13, v3
	;; [unrolled: 1-line block ×3, first 2 shown]
	v_pk_add_f32 v[6:7], v[12:13], v[6:7] neg_lo:[0,1] neg_hi:[0,1]
	v_mov_b32_e32 v9, v5
	v_pk_add_f32 v[6:7], v[8:9], v[6:7] neg_lo:[0,1] neg_hi:[0,1]
	v_mov_b32_e32 v11, v2
	v_add_f32_e32 v5, v14, v6
	v_add_f32_e32 v5, v5, v7
	v_pk_add_f32 v[6:7], v[2:3], v[4:5] neg_lo:[0,1] neg_hi:[0,1]
	v_pk_add_f32 v[8:9], v[2:3], v[4:5]
	v_mov_b32_e32 v16, v3
	v_mov_b32_e32 v7, v9
	v_pk_add_f32 v[12:13], v[10:11], v[6:7] neg_lo:[0,1] neg_hi:[0,1]
	v_pk_add_f32 v[6:7], v[10:11], v[6:7]
	v_mov_b32_e32 v4, v5
	v_pk_add_f32 v[10:11], v[6:7], v[2:3] op_sel:[1,0] op_sel_hi:[0,1] neg_lo:[0,1] neg_hi:[0,1]
	v_pk_add_f32 v[14:15], v[8:9], v[10:11] op_sel_hi:[1,0] neg_lo:[0,1] neg_hi:[0,1]
	v_mov_b32_e32 v8, v9
	v_mov_b32_e32 v9, v7
	;; [unrolled: 1-line block ×3, first 2 shown]
	v_pk_add_f32 v[8:9], v[8:9], v[16:17] neg_lo:[0,1] neg_hi:[0,1]
	v_mov_b32_e32 v5, v2
	v_pk_add_f32 v[2:3], v[4:5], v[8:9] neg_lo:[0,1] neg_hi:[0,1]
	v_mov_b32_e32 v14, v12
	v_pk_add_f32 v[4:5], v[14:15], v[2:3]
	v_mov_b32_e32 v13, v7
	v_pk_add_f32 v[8:9], v[4:5], v[4:5] op_sel:[0,1] op_sel_hi:[1,0]
	s_mov_b32 s4, 0x7f800000
	v_pk_add_f32 v[6:7], v[6:7], v[8:9] op_sel:[1,0] op_sel_hi:[0,1]
	v_mov_b32_e32 v5, v6
	v_pk_add_f32 v[10:11], v[4:5], v[12:13] neg_lo:[0,1] neg_hi:[0,1]
	v_mov_b32_e32 v3, v8
	v_sub_f32_e32 v4, v4, v10
	v_pk_add_f32 v[2:3], v[2:3], v[10:11] neg_lo:[0,1] neg_hi:[0,1]
	v_sub_f32_e32 v4, v12, v4
	v_add_f32_e32 v2, v2, v4
	v_add_f32_e32 v2, v2, v3
	;; [unrolled: 1-line block ×3, first 2 shown]
	v_sub_f32_e32 v4, v3, v6
	v_sub_f32_e32 v2, v2, v4
	v_mul_f32_e32 v4, v1, v3
	v_fma_f32 v3, v1, v3, -v4
	v_fmac_f32_e32 v3, v1, v2
	v_add_f32_e32 v2, v4, v3
	v_cmp_class_f32_e64 vcc, v4, s6
	v_sub_f32_e32 v5, v2, v4
	v_sub_f32_e32 v3, v3, v5
	v_cndmask_b32_e32 v2, v2, v4, vcc
	v_mov_b32_e32 v4, 0x37000000
	v_cmp_eq_f32_e32 vcc, s5, v2
	v_cmp_class_f32_e64 s[10:11], v18, s6
	s_nop 0
	v_cndmask_b32_e32 v4, 0, v4, vcc
	v_sub_f32_e32 v5, v2, v4
	v_mul_f32_e32 v6, 0x3fb8aa3b, v5
	v_fma_f32 v7, v5, s7, -v6
	v_rndne_f32_e32 v8, v6
	v_fmamk_f32 v7, v5, 0x32a5705f, v7
	v_sub_f32_e32 v6, v6, v8
	v_add_f32_e32 v6, v6, v7
	v_exp_f32_e32 v6, v6
	v_cvt_i32_f32_e32 v7, v8
	v_cmp_neq_f32_e64 vcc, |v2|, s4
	s_mov_b32 s4, 0xc2ce8ed0
	s_nop 0
	v_cndmask_b32_e32 v2, 0, v3, vcc
	v_ldexp_f32 v3, v6, v7
	v_cmp_ngt_f32_e32 vcc, s4, v5
	v_add_f32_e32 v2, v4, v2
	v_mov_b32_e32 v4, 0x7f800000
	v_cndmask_b32_e32 v3, 0, v3, vcc
	v_cmp_nlt_f32_e32 vcc, s5, v5
	v_mov_b32_e32 v5, 0x7fc00000
	s_nop 0
	v_cndmask_b32_e32 v3, v4, v3, vcc
	v_fma_f32 v2, v3, v2, v3
	v_cmp_class_f32_e64 vcc, v3, s6
	v_cmp_gt_f32_e64 s[6:7], 0, v1
	s_nop 0
	v_cndmask_b32_e32 v2, v2, v3, vcc
	v_trunc_f32_e32 v3, v1
	v_cmp_eq_f32_e32 vcc, v3, v1
	v_mul_f32_e32 v3, 0.5, v1
	v_trunc_f32_e32 v6, v3
	v_cmp_neq_f32_e64 s[4:5], v6, v3
	s_and_b64 s[4:5], vcc, s[4:5]
	s_nop 0
	v_cndmask_b32_e64 v3, 1.0, v18, s[4:5]
	v_bfi_b32 v2, s9, v2, v3
	v_cndmask_b32_e32 v3, v5, v2, vcc
	v_cmp_gt_f32_e32 vcc, 0, v18
	s_nop 1
	v_cndmask_b32_e32 v2, v2, v3, vcc
	v_cmp_eq_f32_e32 vcc, 0, v18
	s_xor_b64 s[6:7], s[6:7], vcc
	v_cndmask_b32_e64 v1, v4, 0, s[6:7]
	v_cndmask_b32_e64 v3, 0, v18, s[4:5]
	v_bfi_b32 v1, s9, v1, v3
	s_or_b64 vcc, vcc, s[10:11]
	v_cndmask_b32_e32 v1, v2, v1, vcc
	v_cmp_o_f32_e32 vcc, v18, v18
	s_nop 1
	v_cndmask_b32_e32 v127, v5, v1, vcc
.LBB28_2:
	s_load_dwordx16 s[36:51], s[0:1], 0x0
	s_mov_b32 s4, 0
	s_mov_b32 s5, s4
	v_bfe_u32 v125, v0, 10, 10
	v_and_b32_e32 v122, 0x3ff, v0
	v_mov_b32_e32 v28, 0
	s_mov_b32 s6, s4
	s_mov_b32 s7, s4
	v_mov_b64_e32 v[0:1], s[4:5]
	s_lshl_b32 s33, s2, 1
	v_mov_b64_e32 v[2:3], s[6:7]
	v_mov_b32_e32 v29, v28
	v_mov_b32_e32 v30, v28
	v_cmp_lt_u32_e64 s[16:17], 1, v125
	v_cmp_gt_u32_e32 vcc, 2, v125
	v_lshlrev_b32_e32 v126, 2, v122
	scratch_store_dword off, v28, off
	scratch_store_dwordx4 off, v[0:3], off offset:4
	scratch_store_dwordx4 off, v[0:3], off offset:20
	;; [unrolled: 1-line block ×7, first 2 shown]
	scratch_store_dwordx3 off, v[28:30], off offset:116
	s_and_saveexec_b64 s[6:7], vcc
	s_cbranch_execz .LBB28_17
; %bb.3:
	v_lshlrev_b32_e32 v1, 9, v125
	v_or_b32_e32 v0, s33, v125
	v_cmp_le_i32_e32 vcc, s18, v0
	v_lshl_add_u32 v0, v122, 3, v1
	v_sub_u32_e32 v2, 0, v126
	v_add_u32_e32 v6, v1, v122
	v_add_u32_e32 v7, v0, v2
	s_and_saveexec_b64 s[4:5], vcc
	s_xor_b64 s[4:5], exec, s[4:5]
	s_cbranch_execz .LBB28_7
; %bb.4:
	v_cmp_gt_u32_e32 vcc, 8, v122
	v_mov_b32_e32 v2, 0
	v_mad_u32_u24 v1, v122, 3, v6
	ds_write_b32 v7, v2
	ds_write_b32 v1, v2 offset:128
	s_and_saveexec_b64 s[10:11], vcc
; %bb.5:
	v_mov_b32_e32 v3, v2
	ds_write_b64 v0, v[2:3] offset:256
; %bb.6:
	s_or_b64 exec, exec, s[10:11]
                                        ; implicit-def: $vgpr7
                                        ; implicit-def: $vgpr6
.LBB28_7:
	s_andn2_saveexec_b64 s[4:5], s[4:5]
	s_cbranch_execz .LBB28_17
; %bb.8:
	s_load_dwordx4 s[28:31], s[0:1], 0x70
	v_lshlrev_b32_e32 v4, 2, v126
	v_mov_b32_e32 v5, 0
	v_mbcnt_lo_u32_b32 v2, -1, 0
	s_mov_b32 s10, 0x42fe0000
	s_waitcnt lgkmcnt(0)
	s_mul_i32 s4, s54, s30
	s_mul_i32 s9, s28, s33
	;; [unrolled: 1-line block ×3, first 2 shown]
	s_add_i32 s4, s4, s9
	s_add_i32 s4, s4, s5
	s_ashr_i32 s5, s4, 31
	v_mul_lo_u32 v0, s28, v125
	s_add_u32 s4, s36, s4
	v_ashrrev_i32_e32 v1, 31, v0
	s_addc_u32 s5, s37, s5
	v_lshl_add_u64 v[0:1], s[4:5], 0, v[0:1]
	v_lshl_add_u64 v[0:1], v[0:1], 0, v[4:5]
	global_load_dwordx4 v[16:19], v[0:1], off
	v_mbcnt_hi_u32_b32 v4, -1, v2
	v_and_b32_e32 v2, 0x60, v4
	v_xor_b32_e32 v3, 4, v4
	v_add_u32_e32 v11, 32, v2
	v_xor_b32_e32 v8, 2, v4
	v_cmp_lt_i32_e32 vcc, v3, v11
	v_xor_b32_e32 v10, 1, v4
	s_mov_b32 s9, s8
	v_cndmask_b32_e32 v2, v4, v3, vcc
	v_cmp_lt_i32_e32 vcc, v8, v11
	v_lshlrev_b32_e32 v9, 2, v2
	s_waitcnt vmcnt(0)
	v_mov_b32_e32 v2, v19
	v_cndmask_b32_e32 v3, v4, v8, vcc
	v_lshlrev_b32_e32 v8, 2, v3
	v_mov_b32_e32 v3, v17
	v_mul_f32_e32 v14, s8, v16
	v_pk_mul_f32 v[2:3], s[12:13], v[2:3] op_sel_hi:[0,1]
	v_mul_f32_e32 v13, s8, v18
	v_max_f32_e64 v12, |v14|, |v3|
	v_max3_f32 v12, v12, |v13|, |v2|
	ds_bpermute_b32 v15, v9, v12
	v_fma_f32 v16, s8, v16, v3
	v_fmac_f32_e32 v16, s8, v18
	v_add_f32_e32 v16, v16, v2
	ds_bpermute_b32 v17, v9, v16
	s_waitcnt lgkmcnt(1)
	v_max_f32_e32 v15, v15, v15
	v_max_f32_e32 v12, v12, v15
	ds_bpermute_b32 v15, v8, v12
	v_cmp_lt_i32_e32 vcc, v10, v11
	s_waitcnt lgkmcnt(0)
	v_max_f32_e32 v15, v15, v15
	v_cndmask_b32_e32 v4, v4, v10, vcc
	v_lshlrev_b32_e32 v10, 2, v4
	v_add_f32_e32 v4, v16, v17
	v_max_f32_e32 v12, v12, v15
	ds_bpermute_b32 v11, v8, v4
	ds_bpermute_b32 v15, v10, v12
	s_waitcnt lgkmcnt(1)
	v_add_f32_e32 v11, v4, v11
	s_waitcnt lgkmcnt(0)
	v_max_f32_e32 v4, v15, v15
	v_max_f32_e32 v4, v12, v4
	v_div_scale_f32 v15, s[4:5], s10, s10, v4
	v_rcp_f32_e32 v16, v15
	v_div_scale_f32 v17, vcc, v4, s10, v4
	ds_bpermute_b32 v12, v10, v11
	v_fma_f32 v18, -v15, v16, 1.0
	v_fmac_f32_e32 v16, v18, v16
	v_mul_f32_e32 v18, v17, v16
	v_fma_f32 v19, -v15, v18, v17
	v_fmac_f32_e32 v18, v19, v16
	v_fma_f32 v15, -v15, v18, v17
	v_div_fmas_f32 v15, v15, v16, v18
	v_div_fixup_f32 v4, v15, s10, v4
	v_cmp_neq_f32_e32 vcc, 0, v4
	s_and_saveexec_b64 s[4:5], vcc
	s_cbranch_execz .LBB28_10
; %bb.9:
	v_div_scale_f32 v5, s[10:11], v4, v4, v14
	v_rcp_f32_e32 v15, v5
	v_div_scale_f32 v16, vcc, v14, v4, v14
	s_brev_b32 s12, -2
	v_fma_f32 v17, -v5, v15, 1.0
	v_fmac_f32_e32 v15, v17, v15
	v_mul_f32_e32 v17, v16, v15
	v_fma_f32 v18, -v5, v17, v16
	v_fmac_f32_e32 v17, v18, v15
	v_fma_f32 v5, -v5, v17, v16
	v_div_fmas_f32 v5, v5, v15, v17
	v_div_fixup_f32 v5, v5, v4, v14
	v_trunc_f32_e32 v14, v5
	v_sub_f32_e32 v15, v5, v14
	v_cmp_ge_f32_e64 s[10:11], |v15|, 0.5
	s_nop 1
	v_cndmask_b32_e64 v15, 0, 1.0, s[10:11]
	v_div_scale_f32 v16, s[10:11], v4, v4, v2
	v_rcp_f32_e32 v17, v16
	v_bfi_b32 v5, s12, v15, v5
	v_add_f32_e32 v5, v14, v5
	v_cvt_i32_f32_e32 v5, v5
	v_fma_f32 v14, -v16, v17, 1.0
	v_fmac_f32_e32 v17, v14, v17
	v_div_scale_f32 v14, vcc, v2, v4, v2
	v_mul_f32_e32 v15, v14, v17
	v_fma_f32 v18, -v16, v15, v14
	v_fmac_f32_e32 v15, v18, v17
	v_div_scale_f32 v18, s[10:11], v4, v4, v3
	v_rcp_f32_e32 v19, v18
	v_fma_f32 v14, -v16, v15, v14
	v_div_fmas_f32 v14, v14, v17, v15
	v_div_fixup_f32 v2, v14, v4, v2
	v_fma_f32 v15, -v18, v19, 1.0
	v_fmac_f32_e32 v19, v15, v19
	v_div_scale_f32 v15, vcc, v3, v4, v3
	v_mul_f32_e32 v16, v15, v19
	v_fma_f32 v17, -v18, v16, v15
	v_fmac_f32_e32 v16, v17, v19
	v_div_scale_f32 v17, s[10:11], v4, v4, v13
	v_rcp_f32_e32 v20, v17
	v_fma_f32 v15, -v18, v16, v15
	v_div_fmas_f32 v15, v15, v19, v16
	v_div_fixup_f32 v3, v15, v4, v3
	v_fma_f32 v16, -v17, v20, 1.0
	v_fmac_f32_e32 v20, v16, v20
	v_div_scale_f32 v16, vcc, v13, v4, v13
	v_mul_f32_e32 v18, v16, v20
	v_fma_f32 v19, -v17, v18, v16
	v_fmac_f32_e32 v18, v19, v20
	v_fma_f32 v16, -v17, v18, v16
	v_div_fmas_f32 v16, v16, v20, v18
	v_div_fixup_f32 v13, v16, v4, v13
	v_trunc_f32_e32 v16, v13
	v_sub_f32_e32 v17, v13, v16
	v_trunc_f32_e32 v14, v3
	v_cmp_ge_f32_e64 s[10:11], |v17|, 0.5
	v_sub_f32_e32 v15, v3, v14
	v_and_b32_e32 v5, 0xff, v5
	v_cndmask_b32_e64 v17, 0, 1.0, s[10:11]
	v_cmp_ge_f32_e64 s[10:11], |v15|, 0.5
	v_bfi_b32 v13, s12, v17, v13
	v_add_f32_e32 v13, v16, v13
	v_cndmask_b32_e64 v15, 0, 1.0, s[10:11]
	v_bfi_b32 v3, s12, v15, v3
	v_add_f32_e32 v3, v14, v3
	v_trunc_f32_e32 v14, v2
	v_sub_f32_e32 v15, v2, v14
	v_cmp_ge_f32_e64 s[10:11], |v15|, 0.5
	v_cvt_i32_f32_e32 v13, v13
	v_cvt_i32_f32_e32 v3, v3
	v_cndmask_b32_e64 v15, 0, 1.0, s[10:11]
	v_bfi_b32 v2, s12, v15, v2
	v_add_f32_e32 v2, v14, v2
	v_cvt_i32_f32_e32 v2, v2
	v_and_b32_e32 v13, 0xff, v13
	v_lshlrev_b32_e32 v13, 16, v13
	v_mov_b32_e32 v14, 8
	v_lshlrev_b32_sdwa v3, v14, v3 dst_sel:DWORD dst_unused:UNUSED_PAD src0_sel:DWORD src1_sel:BYTE_0
	v_lshl_or_b32 v2, v2, 24, v13
	v_or3_b32 v5, v2, v3, v5
.LBB28_10:
	s_or_b64 exec, exec, s[4:5]
	v_and_b32_e32 v2, 7, v122
	v_cmp_eq_u32_e64 s[4:5], 0, v2
	ds_write_b32 v7, v5
	s_and_saveexec_b64 s[10:11], s[4:5]
	s_cbranch_execz .LBB28_12
; %bb.11:
	s_waitcnt lgkmcnt(1)
	v_add_f32_e32 v5, v11, v12
	ds_write_b64 v6, v[4:5] offset:256
.LBB28_12:
	s_or_b64 exec, exec, s[10:11]
	s_waitcnt lgkmcnt(1)
	global_load_dwordx4 v[12:15], v[0:1], off offset:512
	s_mov_b32 s10, 0x42fe0000
	s_waitcnt vmcnt(0)
	v_mov_b32_e32 v0, v15
	v_mov_b32_e32 v1, v13
	v_mul_f32_e32 v11, s8, v12
	v_pk_mul_f32 v[0:1], s[8:9], v[0:1]
	v_mul_f32_e32 v5, s8, v14
	v_max_f32_e64 v2, |v11|, |v1|
	v_max3_f32 v2, v2, |v5|, |v0|
	ds_bpermute_b32 v3, v9, v2
	v_fma_f32 v4, s8, v12, v1
	v_fmac_f32_e32 v4, s8, v14
	v_add_f32_e32 v4, v4, v0
	ds_bpermute_b32 v9, v9, v4
	s_waitcnt lgkmcnt(1)
	v_max_f32_e32 v3, v3, v3
	v_max_f32_e32 v2, v2, v3
	ds_bpermute_b32 v3, v8, v2
	s_waitcnt lgkmcnt(1)
	v_add_f32_e32 v4, v4, v9
	ds_bpermute_b32 v8, v8, v4
	s_waitcnt lgkmcnt(1)
	v_max_f32_e32 v3, v3, v3
	v_max_f32_e32 v2, v2, v3
	ds_bpermute_b32 v9, v10, v2
	s_waitcnt lgkmcnt(1)
	v_add_f32_e32 v3, v4, v8
	s_waitcnt lgkmcnt(0)
	v_max_f32_e32 v4, v9, v9
	v_max_f32_e32 v2, v2, v4
	v_div_scale_f32 v8, s[8:9], s10, s10, v2
	v_rcp_f32_e32 v9, v8
	ds_bpermute_b32 v4, v10, v3
	v_div_scale_f32 v10, vcc, v2, s10, v2
	v_fma_f32 v12, -v8, v9, 1.0
	v_fmac_f32_e32 v9, v12, v9
	v_mul_f32_e32 v12, v10, v9
	v_fma_f32 v13, -v8, v12, v10
	v_fmac_f32_e32 v12, v13, v9
	v_fma_f32 v8, -v8, v12, v10
	v_div_fmas_f32 v8, v8, v9, v12
	v_div_fixup_f32 v2, v8, s10, v2
	v_cmp_neq_f32_e32 vcc, 0, v2
	v_mov_b32_e32 v8, 0
	s_and_saveexec_b64 s[8:9], vcc
	s_cbranch_execz .LBB28_14
; %bb.13:
	v_div_scale_f32 v8, s[10:11], v2, v2, v11
	v_rcp_f32_e32 v9, v8
	v_div_scale_f32 v10, vcc, v11, v2, v11
	s_brev_b32 s12, -2
	v_fma_f32 v12, -v8, v9, 1.0
	v_fmac_f32_e32 v9, v12, v9
	v_mul_f32_e32 v12, v10, v9
	v_fma_f32 v13, -v8, v12, v10
	v_fmac_f32_e32 v12, v13, v9
	v_fma_f32 v8, -v8, v12, v10
	v_div_fmas_f32 v8, v8, v9, v12
	v_div_fixup_f32 v8, v8, v2, v11
	v_trunc_f32_e32 v9, v8
	v_sub_f32_e32 v10, v8, v9
	v_cmp_ge_f32_e64 s[10:11], |v10|, 0.5
	s_nop 1
	v_cndmask_b32_e64 v10, 0, 1.0, s[10:11]
	v_div_scale_f32 v11, s[10:11], v2, v2, v0
	v_rcp_f32_e32 v12, v11
	v_bfi_b32 v8, s12, v10, v8
	v_add_f32_e32 v8, v9, v8
	v_cvt_i32_f32_e32 v8, v8
	v_fma_f32 v9, -v11, v12, 1.0
	v_fmac_f32_e32 v12, v9, v12
	v_div_scale_f32 v9, vcc, v0, v2, v0
	v_mul_f32_e32 v10, v9, v12
	v_fma_f32 v13, -v11, v10, v9
	v_fmac_f32_e32 v10, v13, v12
	v_div_scale_f32 v13, s[10:11], v2, v2, v1
	v_rcp_f32_e32 v14, v13
	v_fma_f32 v9, -v11, v10, v9
	v_div_fmas_f32 v9, v9, v12, v10
	v_div_fixup_f32 v0, v9, v2, v0
	v_fma_f32 v10, -v13, v14, 1.0
	v_fmac_f32_e32 v14, v10, v14
	v_div_scale_f32 v10, vcc, v1, v2, v1
	v_mul_f32_e32 v11, v10, v14
	v_fma_f32 v12, -v13, v11, v10
	v_fmac_f32_e32 v11, v12, v14
	v_div_scale_f32 v12, s[10:11], v2, v2, v5
	v_rcp_f32_e32 v15, v12
	v_fma_f32 v10, -v13, v11, v10
	v_div_fmas_f32 v10, v10, v14, v11
	v_div_fixup_f32 v1, v10, v2, v1
	v_fma_f32 v11, -v12, v15, 1.0
	v_fmac_f32_e32 v15, v11, v15
	v_div_scale_f32 v11, vcc, v5, v2, v5
	v_mul_f32_e32 v13, v11, v15
	v_fma_f32 v14, -v12, v13, v11
	v_fmac_f32_e32 v13, v14, v15
	v_fma_f32 v11, -v12, v13, v11
	v_div_fmas_f32 v11, v11, v15, v13
	v_div_fixup_f32 v5, v11, v2, v5
	v_trunc_f32_e32 v11, v5
	v_sub_f32_e32 v12, v5, v11
	v_trunc_f32_e32 v9, v1
	v_cmp_ge_f32_e64 s[10:11], |v12|, 0.5
	v_sub_f32_e32 v10, v1, v9
	s_nop 0
	v_cndmask_b32_e64 v12, 0, 1.0, s[10:11]
	v_cmp_ge_f32_e64 s[10:11], |v10|, 0.5
	v_bfi_b32 v5, s12, v12, v5
	v_add_f32_e32 v5, v11, v5
	v_cndmask_b32_e64 v10, 0, 1.0, s[10:11]
	v_bfi_b32 v1, s12, v10, v1
	v_add_f32_e32 v1, v9, v1
	v_trunc_f32_e32 v9, v0
	v_sub_f32_e32 v10, v0, v9
	v_cmp_ge_f32_e64 s[10:11], |v10|, 0.5
	v_cvt_i32_f32_e32 v5, v5
	v_cvt_i32_f32_e32 v1, v1
	v_cndmask_b32_e64 v10, 0, 1.0, s[10:11]
	v_bfi_b32 v0, s12, v10, v0
	v_add_f32_e32 v0, v9, v0
	v_cvt_i32_f32_e32 v0, v0
	v_and_b32_e32 v5, 0xff, v5
	v_lshlrev_b32_e32 v5, 16, v5
	v_mov_b32_e32 v9, 8
	v_lshlrev_b32_sdwa v1, v9, v1 dst_sel:DWORD dst_unused:UNUSED_PAD src0_sel:DWORD src1_sel:BYTE_0
	v_lshl_or_b32 v0, v0, 24, v5
	v_and_b32_e32 v5, 0xff, v8
	v_or3_b32 v8, v0, v1, v5
.LBB28_14:
	s_or_b64 exec, exec, s[8:9]
	ds_write_b32 v7, v8 offset:128
	s_and_saveexec_b64 s[8:9], s[4:5]
	s_cbranch_execz .LBB28_16
; %bb.15:
	s_waitcnt lgkmcnt(1)
	v_add_f32_e32 v3, v3, v4
	ds_write_b64 v6, v[2:3] offset:288
.LBB28_16:
	s_or_b64 exec, exec, s[8:9]
.LBB28_17:
	s_or_b64 exec, exec, s[6:7]
	v_and_b32_e32 v32, 3, v122
	v_lshlrev_b32_e32 v33, 2, v32
	s_waitcnt lgkmcnt(0)
	s_barrier
	ds_read2_b32 v[50:51], v33 offset1:4
	ds_read2_b32 v[52:53], v33 offset0:8 offset1:12
	ds_read_b128 v[0:3], v28 offset:256
	ds_read_b128 v[4:7], v28 offset:272
	;; [unrolled: 1-line block ×4, first 2 shown]
	ds_read2_b32 v[54:55], v33 offset0:16 offset1:20
	ds_read2_b32 v[56:57], v33 offset0:24 offset1:28
	;; [unrolled: 1-line block ×9, first 2 shown]
	ds_read_b128 v[16:19], v28 offset:768
	ds_read_b128 v[20:23], v28 offset:784
	ds_read2_b32 v[72:73], v33 offset0:152 offset1:156
	ds_read2_b32 v[74:75], v33 offset0:160 offset1:164
	ds_read_b128 v[24:27], v28 offset:800
	ds_read_b128 v[28:31], v28 offset:816
	ds_read2_b32 v[76:77], v33 offset0:168 offset1:172
	ds_read2_b32 v[78:79], v33 offset0:176 offset1:180
	;; [unrolled: 1-line block ×3, first 2 shown]
	s_cmp_eq_u64 s[46:47], 0
	s_mov_b32 s21, s52
	s_waitcnt lgkmcnt(0)
	s_barrier
	s_cbranch_scc1 .LBB28_19
; %bb.18:
	s_load_dword s4, s[0:1], 0xd0
	s_mov_b32 s5, 0
	s_waitcnt lgkmcnt(0)
	s_mul_i32 s4, s4, s54
	s_add_i32 s4, s4, s2
	s_lshl_b64 s[4:5], s[4:5], 2
	s_add_u32 s4, s46, s4
	s_addc_u32 s5, s47, s5
	s_load_dword s21, s[4:5], 0x0
.LBB28_19:
	v_lshlrev_b32_e32 v33, 5, v125
	v_add_u32_e32 v123, v33, v122
	s_lshl_b32 s22, s3, 7
	s_mov_b32 s25, 0
	s_waitcnt lgkmcnt(0)
	s_cmp_ge_i32 s22, s21
	v_mbcnt_lo_u32_b32 v128, -1, 0
	v_lshlrev_b32_e32 v124, 1, v123
	s_cbranch_scc1 .LBB28_39
; %bb.20:
	s_sub_i32 s2, 0, s26
	s_sub_i32 s4, 0, s24
	s_mul_i32 s2, s2, s15
	s_mul_i32 s4, s4, s14
	s_mul_hi_u32 s2, s15, s2
	s_mul_hi_u32 s4, s14, s4
	s_abs_i32 s6, s20
	s_add_i32 s15, s15, s2
	s_abs_i32 s2, s54
	s_add_i32 s14, s14, s4
	s_mul_hi_u32 s7, s6, s15
	s_mul_hi_u32 s8, s2, s14
	s_load_dwordx2 s[10:11], s[0:1], 0x8c
	s_load_dwordx4 s[12:15], s[0:1], 0x98
	s_ashr_i32 s28, s54, 31
	s_ashr_i32 s9, s20, 31
	;; [unrolled: 1-line block ×3, first 2 shown]
	s_xor_b32 s9, s9, s27
	s_waitcnt lgkmcnt(0)
	s_mul_hi_u32 s29, s12, s54
	s_mul_i32 s30, s12, s28
	s_add_i32 s29, s29, s30
	s_mul_i32 s13, s13, s54
	s_add_i32 s29, s29, s13
	s_mul_i32 s13, s7, s26
	s_sub_i32 s6, s6, s13
	s_add_i32 s13, s7, 1
	s_sub_i32 s27, s6, s26
	s_cmp_ge_u32 s6, s26
	s_cselect_b32 s7, s13, s7
	s_cselect_b32 s6, s27, s6
	s_add_i32 s13, s7, 1
	s_cmp_ge_u32 s6, s26
	s_cselect_b32 s6, s13, s7
	s_xor_b32 s6, s6, s9
	s_load_dwordx2 s[4:5], s[0:1], 0xa8
	s_sub_i32 s9, s6, s9
	s_mul_i32 s6, s9, s11
	s_mul_i32 s12, s12, s54
	s_ashr_i32 s7, s6, 31
	s_add_u32 s11, s38, s12
	s_addc_u32 s12, s39, s29
	s_add_u32 s11, s11, s6
	s_waitcnt lgkmcnt(0)
	s_mul_hi_u32 s26, s4, s54
	s_mul_i32 s27, s4, s28
	s_addc_u32 s12, s12, s7
	s_add_i32 s26, s26, s27
	s_mul_i32 s5, s5, s54
	s_mul_i32 s9, s9, s15
	s_add_i32 s26, s26, s5
	s_mul_i32 s4, s4, s54
	s_ashr_i32 s5, s9, 31
	s_add_u32 s4, s40, s4
	s_addc_u32 s15, s41, s26
	s_add_u32 s9, s4, s9
	s_mul_i32 s8, s8, s24
	s_addc_u32 s15, s15, s5
	s_sub_i32 s2, s2, s8
	s_sub_i32 s4, s2, s24
	s_cmp_ge_u32 s2, s24
	s_cselect_b32 s2, s4, s2
	s_sub_i32 s4, s2, s24
	s_cmp_ge_u32 s2, s24
	s_load_dwordx2 s[6:7], s[0:1], 0xc8
	s_load_dword s13, s[0:1], 0xd4
	s_cselect_b32 s2, s4, s2
	s_xor_b32 s2, s2, s28
	s_sub_i32 s2, s2, s28
	s_ashr_i32 s4, s2, 31
	s_waitcnt lgkmcnt(0)
	s_mul_i32 s4, s6, s4
	s_mul_hi_u32 s5, s6, s2
	s_add_i32 s4, s5, s4
	s_mul_i32 s5, s7, s2
	s_add_i32 s4, s4, s5
	s_mul_i32 s2, s6, s2
	s_add_u32 s2, s42, s2
	s_mul_i32 s5, s23, s33
	s_addc_u32 s4, s43, s4
	s_ashr_i32 s6, s5, 31
	s_add_u32 s2, s2, s5
	s_mov_b32 s23, s25
	s_addc_u32 s6, s4, s6
	s_lshl_b64 s[4:5], s[22:23], 1
	s_add_u32 s26, s2, s4
	s_addc_u32 s27, s6, s5
	s_mul_i32 s2, s14, s22
	s_add_u32 s28, s9, s2
	s_addc_u32 s29, s15, 0
	s_mul_i32 s2, s10, s22
	v_and_b32_e32 v34, 0x7c, v122
	s_add_u32 s30, s11, s2
	v_add_u32_e32 v82, v33, v34
	v_mbcnt_hi_u32_b32 v34, -1, v128
	s_addc_u32 s31, s12, 0
	v_and_b32_e32 v35, 0x7c, v34
	v_add_u32_e32 v35, 4, v35
	v_xor_b32_e32 v36, 2, v34
	s_cmp_lg_u64 s[42:43], 0
	v_cmp_lt_i32_e32 vcc, v36, v35
	s_cselect_b64 s[6:7], -1, 0
	s_lshl_b32 s24, s13, 7
	v_cndmask_b32_e32 v36, v34, v36, vcc
	s_cmp_lt_i32 s33, s18
	v_lshlrev_b32_e32 v129, 2, v36
	v_xor_b32_e32 v36, 1, v34
	s_cselect_b64 s[8:9], -1, 0
	v_cmp_lt_i32_e32 vcc, v36, v35
	v_mul_lo_u32 v88, v82, s10
	s_and_b64 s[34:35], s[6:7], s[8:9]
	s_or_b32 s8, s33, 1
	v_cndmask_b32_e32 v35, v34, v36, vcc
	s_cmp_lt_i32 s8, s18
	v_add_u32_e32 v92, s10, v88
	v_lshlrev_b32_e32 v130, 2, v35
	v_and_b32_e32 v35, 0x60, v34
	s_cselect_b64 s[8:9], -1, 0
	v_add_u32_e32 v94, s10, v92
	v_add_u32_e32 v35, 32, v35
	s_mul_i32 s2, s24, s10
	v_cmp_eq_u32_e64 s[4:5], 0, v32
	s_and_b64 s[36:37], s[6:7], s[8:9]
	v_cmp_eq_u32_e64 s[6:7], 1, v32
	v_cmp_eq_u32_e64 s[8:9], 2, v32
	v_add_u32_e32 v96, s10, v94
	v_cmp_eq_u32_e64 s[10:11], 3, v32
	v_xor_b32_e32 v32, 4, v34
	v_cmp_lt_i32_e32 vcc, v32, v35
	v_lshrrev_b32_e32 v37, 3, v122
	v_mov_b32_e32 v87, 0
	v_cndmask_b32_e32 v32, v34, v32, vcc
	v_lshlrev_b32_e32 v131, 2, v32
	v_xor_b32_e32 v32, 8, v34
	v_cmp_lt_i32_e32 vcc, v32, v35
	v_lshlrev_b32_e32 v36, 3, v122
	v_and_b32_e32 v36, 56, v36
	v_cndmask_b32_e32 v32, v34, v32, vcc
	v_lshlrev_b32_e32 v132, 2, v32
	v_xor_b32_e32 v32, 16, v34
	v_cmp_lt_i32_e32 vcc, v32, v35
	v_mov_b32_e32 v83, v87
	v_add_u32_e32 v90, s52, v82
	v_cndmask_b32_e32 v32, v34, v32, vcc
	v_lshlrev_b32_e32 v133, 2, v32
	v_or_b32_e32 v32, v33, v37
	v_lshlrev_b32_e32 v134, 1, v32
	v_mul_lo_u32 v98, v32, s14
	v_add_u32_e32 v33, v33, v37
	v_or_b32_e32 v32, 16, v32
	v_add_u32_e32 v34, 4, v33
	v_mul_lo_u32 v106, v32, s14
	v_add_u32_e32 v32, 20, v33
	v_mul_lo_u32 v100, v34, s14
	;; [unrolled: 2-line block ×6, first 2 shown]
	v_mul_lo_u32 v112, v32, s14
	s_ashr_i32 s53, s52, 31
	v_and_b32_e32 v84, 12, v126
	v_mov_b32_e32 v85, v87
	s_mul_i32 s23, s24, s14
	v_ashrrev_i32_e32 v89, 31, v88
	v_ashrrev_i32_e32 v91, 31, v90
	v_ashrrev_i32_e32 v93, 31, v92
	v_ashrrev_i32_e32 v95, 31, v94
	v_ashrrev_i32_e32 v97, 31, v96
	v_ashrrev_i32_e32 v99, 31, v98
	v_lshlrev_b32_e32 v135, 1, v33
	v_ashrrev_i32_e32 v101, 31, v100
	v_ashrrev_i32_e32 v103, 31, v102
	;; [unrolled: 1-line block ×7, first 2 shown]
	v_lshl_add_u64 v[114:115], s[52:53], 0, v[82:83]
	v_mov_b32_e32 v34, 0xfeffffff
	s_mov_b32 s38, 0x3fb8aa3b
	s_mov_b32 s39, 0xc2ce8ed0
	;; [unrolled: 1-line block ×3, first 2 shown]
	v_lshlrev_b32_e32 v86, 1, v36
	v_mov_b32_e32 v83, 0x7f800000
	v_mov_b32_e32 v48, v87
	;; [unrolled: 1-line block ×6, first 2 shown]
.LBB28_21:                              ; =>This Inner Loop Header: Depth=1
	v_lshl_add_u64 v[32:33], s[30:31], 0, v[88:89]
	global_load_dword v35, v[32:33], off
	global_load_dword v36, v[32:33], off offset:20
	global_load_dword v38, v[32:33], off offset:40
	;; [unrolled: 1-line block ×7, first 2 shown]
	v_lshl_add_u64 v[32:33], v[32:33], 0, v[84:85]
	global_load_dword v118, v[32:33], off offset:4
	global_load_dword v119, v[32:33], off offset:24
	;; [unrolled: 1-line block ×8, first 2 shown]
	v_mov_b32_e32 v152, 0
	v_mov_b32_e32 v153, 0
	;; [unrolled: 1-line block ×6, first 2 shown]
	s_and_b64 vcc, exec, s[34:35]
	s_waitcnt vmcnt(15)
	v_cvt_f32_f16_e32 v147, v35
	v_cvt_f32_f16_sdwa v146, v35 dst_sel:DWORD dst_unused:UNUSED_PAD src0_sel:WORD_1
	s_waitcnt vmcnt(7)
	v_and_b32_e32 v150, 0xf0f0f0f, v118
	v_lshrrev_b32_e32 v35, 4, v118
	v_cvt_f32_f16_e32 v46, v40
	v_cvt_f32_f16_sdwa v47, v40 dst_sel:DWORD dst_unused:UNUSED_PAD src0_sel:WORD_1
	v_dot4c_i32_i8_e32 v152, v150, v50
	v_cvt_f32_f16_sdwa v142, v36 dst_sel:DWORD dst_unused:UNUSED_PAD src0_sel:WORD_1
	v_cvt_f32_f16_e32 v139, v38
	s_waitcnt vmcnt(0)
	v_and_b32_e32 v40, 0xf0f0f0f, v151
	v_lshrrev_b32_e32 v160, 4, v151
	v_and_b32_e32 v151, 0xf0f0f0f, v35
	v_cvt_f32_f16_sdwa v138, v38 dst_sel:DWORD dst_unused:UNUSED_PAD src0_sel:WORD_1
	v_and_b32_e32 v148, 0xf0f0f0f, v119
	v_lshrrev_b32_e32 v38, 4, v119
	v_and_b32_e32 v144, 0xf0f0f0f, v136
	v_cvt_f32_i32_e32 v35, v152
	v_dot4c_i32_i8_e32 v153, v151, v51
	v_cvt_f32_f16_e32 v143, v36
	v_cvt_f32_f16_e32 v120, v39
	v_cvt_f32_f16_sdwa v121, v39 dst_sel:DWORD dst_unused:UNUSED_PAD src0_sel:WORD_1
	v_cvt_f32_f16_e32 v36, v44
	v_cvt_f32_f16_sdwa v39, v44 dst_sel:DWORD dst_unused:UNUSED_PAD src0_sel:WORD_1
	v_and_b32_e32 v44, 0xf0f0f0f, v149
	v_lshrrev_b32_e32 v159, 4, v149
	v_and_b32_e32 v149, 0xf0f0f0f, v38
	v_dot4c_i32_i8_e32 v154, v148, v52
	v_dot4c_i32_i8_e32 v156, v144, v54
	v_cvt_f32_i32_e32 v153, v153
	v_dot4c_i32_i8_e32 v155, v149, v53
	v_cvt_f32_i32_e32 v38, v154
	v_cvt_f32_i32_e32 v152, v156
	v_mul_f32_e32 v156, v1, v146
	v_cvt_f32_f16_e32 v32, v45
	v_cvt_f32_f16_sdwa v33, v45 dst_sel:DWORD dst_unused:UNUSED_PAD src0_sel:WORD_1
	v_lshrrev_b32_e32 v45, 4, v137
	v_mul_f32_e32 v154, v0, v147
	v_cvt_f32_i32_e32 v155, v155
	v_mul_f32_e32 v156, 0x3e000000, v156
	v_cvt_f32_f16_e32 v42, v41
	v_cvt_f32_f16_sdwa v43, v41 dst_sel:DWORD dst_unused:UNUSED_PAD src0_sel:WORD_1
	v_lshrrev_b32_e32 v41, 4, v136
	v_and_b32_e32 v136, 0xf0f0f0f, v141
	v_lshrrev_b32_e32 v119, 4, v141
	v_lshrrev_b32_e32 v158, 4, v145
	v_and_b32_e32 v141, 0xf0f0f0f, v45
	v_and_b32_e32 v45, 0xf0f0f0f, v159
	v_mul_f32_e32 v159, v3, v142
	v_fma_f32 v35, v154, v35, v156
	v_and_b32_e32 v140, 0xf0f0f0f, v137
	v_and_b32_e32 v137, 0xf0f0f0f, v119
	;; [unrolled: 1-line block ×3, first 2 shown]
	v_mul_f32_e32 v158, v2, v143
	v_mul_f32_e32 v159, 0x3e000000, v159
	v_add_f32_e32 v35, 0, v35
	v_fmac_f32_e32 v156, v154, v153
	v_mul_f32_e32 v161, v5, v138
	v_fma_f32 v38, v158, v38, v159
	v_add_f32_e32 v35, v35, v156
	v_and_b32_e32 v118, 0xf0f0f0f, v145
	v_and_b32_e32 v145, 0xf0f0f0f, v41
	;; [unrolled: 1-line block ×3, first 2 shown]
	v_mul_f32_e32 v160, v4, v139
	v_mul_f32_e32 v161, 0x3e000000, v161
	v_fmac_f32_e32 v159, v158, v155
	v_add_f32_e32 v35, v35, v38
	v_add_f32_e32 v35, v35, v159
	v_fma_f32 v38, v160, v152, v161
	v_dot4c_i32_i8_e32 v157, v145, v55
	v_add_f32_e32 v35, v35, v38
	v_mov_b32_e32 v38, 0
	v_mov_b32_e32 v153, 0
	v_cvt_f32_i32_e32 v157, v157
	v_dot4c_i32_i8_e32 v38, v140, v56
	v_dot4c_i32_i8_e32 v153, v141, v57
	v_mul_f32_e32 v154, v7, v121
	v_fmac_f32_e32 v161, v160, v157
	v_cvt_f32_i32_e32 v152, v38
	v_cvt_f32_i32_e32 v153, v153
	v_mul_f32_e32 v38, v6, v120
	v_mul_f32_e32 v154, 0x3e000000, v154
	v_add_f32_e32 v35, v35, v161
	v_pk_fma_f32 v[152:153], v[38:39], v[152:153], v[154:155] op_sel_hi:[0,1,0]
	v_add_f32_e32 v35, v35, v152
	v_add_f32_e32 v35, v35, v153
	v_mov_b32_e32 v38, 0
	v_mov_b32_e32 v153, 0
	v_dot4c_i32_i8_e32 v38, v136, v58
	v_dot4c_i32_i8_e32 v153, v137, v59
	v_mul_f32_e32 v154, v9, v47
	v_mul_f32_e32 v154, 0x3e000000, v154
	v_cvt_f32_i32_e32 v152, v38
	v_cvt_f32_i32_e32 v153, v153
	v_mul_f32_e32 v38, v8, v46
	v_pk_fma_f32 v[152:153], v[38:39], v[152:153], v[154:155] op_sel_hi:[0,1,0]
	v_add_f32_e32 v35, v35, v152
	v_add_f32_e32 v35, v35, v153
	v_mov_b32_e32 v38, 0
	v_mov_b32_e32 v153, 0
	v_dot4c_i32_i8_e32 v38, v118, v60
	v_dot4c_i32_i8_e32 v153, v119, v61
	v_mul_f32_e32 v154, v11, v43
	v_mul_f32_e32 v154, 0x3e000000, v154
	v_cvt_f32_i32_e32 v152, v38
	v_cvt_f32_i32_e32 v153, v153
	v_mul_f32_e32 v38, v10, v42
	;; [unrolled: 12-line block ×4, first 2 shown]
	v_pk_fma_f32 v[152:153], v[38:39], v[152:153], v[154:155] op_sel_hi:[0,1,0]
	v_add_f32_e32 v35, v35, v152
	v_add_f32_e32 v35, v35, v153
	ds_bpermute_b32 v38, v129, v35
	s_waitcnt lgkmcnt(0)
	v_add_f32_e32 v35, v35, v38
	ds_bpermute_b32 v38, v130, v35
	s_waitcnt lgkmcnt(0)
	v_add_f32_e32 v35, v35, v38
	v_lshlrev_b32_e32 v38, 1, v82
	s_cbranch_vccz .LBB28_23
; %bb.22:                               ;   in Loop: Header=BB28_21 Depth=1
	global_load_ushort v152, v38, s[26:27]
	s_waitcnt vmcnt(0)
	v_fma_mix_f32 v35, v127, v152, v35 op_sel_hi:[0,1,0]
.LBB28_23:                              ;   in Loop: Header=BB28_21 Depth=1
	v_mov_b32_e32 v152, 0
	v_dot4c_i32_i8_e32 v152, v150, v66
	v_mul_f32_e32 v146, v17, v146
	v_mul_f32_e32 v147, v16, v147
	;; [unrolled: 1-line block ×3, first 2 shown]
	v_cvt_f32_i32_e32 v150, v152
	v_mov_b32_e32 v152, 0
	v_dot4c_i32_i8_e32 v152, v151, v67
	v_mul_f32_e32 v142, v19, v142
	v_fma_f32 v150, v147, v150, v146
	v_mul_f32_e32 v143, v18, v143
	v_cvt_f32_i32_e32 v151, v152
	v_mul_f32_e32 v142, 0x3e000000, v142
	v_add_f32_e32 v150, 0, v150
	v_mul_f32_e32 v138, v21, v138
	v_fmac_f32_e32 v146, v147, v151
	v_mov_b32_e32 v147, 0
	v_dot4c_i32_i8_e32 v147, v148, v68
	v_mov_b32_e32 v148, 0
	v_dot4c_i32_i8_e32 v148, v149, v69
	v_add_f32_e32 v146, v150, v146
	v_cvt_f32_i32_e32 v147, v147
	v_mul_f32_e32 v139, v20, v139
	v_cvt_f32_i32_e32 v148, v148
	v_mul_f32_e32 v138, 0x3e000000, v138
	v_fma_f32 v147, v143, v147, v142
	v_add_f32_e32 v146, v146, v147
	v_fmac_f32_e32 v142, v143, v148
	v_mov_b32_e32 v143, 0
	v_dot4c_i32_i8_e32 v143, v144, v70
	v_mov_b32_e32 v144, 0
	v_dot4c_i32_i8_e32 v144, v145, v71
	v_add_f32_e32 v142, v146, v142
	v_cvt_f32_i32_e32 v143, v143
	v_mul_f32_e32 v121, v23, v121
	v_cvt_f32_i32_e32 v144, v144
	v_mul_f32_e32 v120, v22, v120
	v_fma_f32 v143, v139, v143, v138
	v_add_f32_e32 v142, v142, v143
	v_fmac_f32_e32 v138, v139, v144
	v_add_f32_e32 v142, v142, v138
	v_mov_b32_e32 v138, 0
	v_mov_b32_e32 v139, 0
	v_dot4c_i32_i8_e32 v138, v140, v72
	v_dot4c_i32_i8_e32 v139, v141, v73
	v_mul_f32_e32 v140, 0x3e000000, v121
	v_mul_f32_e32 v47, v25, v47
	v_cvt_f32_i32_e32 v138, v138
	v_cvt_f32_i32_e32 v139, v139
	v_mul_f32_e32 v46, v24, v46
	v_mul_f32_e32 v43, v27, v43
	;; [unrolled: 1-line block ×3, first 2 shown]
	v_pk_fma_f32 v[120:121], v[120:121], v[138:139], v[140:141] op_sel_hi:[0,1,0]
	v_add_f32_e32 v120, v142, v120
	v_add_f32_e32 v138, v120, v121
	v_mov_b32_e32 v120, 0
	v_mov_b32_e32 v121, 0
	v_dot4c_i32_i8_e32 v120, v136, v74
	v_dot4c_i32_i8_e32 v121, v137, v75
	v_mul_f32_e32 v136, 0x3e000000, v47
	v_mul_f32_e32 v39, v29, v39
	v_cvt_f32_i32_e32 v120, v120
	v_cvt_f32_i32_e32 v121, v121
	v_mul_f32_e32 v36, v28, v36
	v_mul_f32_e32 v33, v31, v33
	;; [unrolled: 1-line block ×3, first 2 shown]
	v_pk_fma_f32 v[46:47], v[46:47], v[120:121], v[136:137] op_sel_hi:[0,1,0]
	v_add_f32_e32 v46, v138, v46
	v_add_f32_e32 v120, v46, v47
	v_mov_b32_e32 v46, 0
	v_mov_b32_e32 v47, 0
	v_dot4c_i32_i8_e32 v46, v118, v76
	v_dot4c_i32_i8_e32 v47, v119, v77
	v_mul_f32_e32 v118, 0x3e000000, v43
	s_andn2_b64 vcc, exec, s[36:37]
	v_cvt_f32_i32_e32 v46, v46
	v_cvt_f32_i32_e32 v47, v47
	v_pk_fma_f32 v[42:43], v[42:43], v[46:47], v[118:119] op_sel_hi:[0,1,0]
	v_add_f32_e32 v42, v120, v42
	v_add_f32_e32 v46, v42, v43
	v_mov_b32_e32 v42, 0
	v_mov_b32_e32 v43, 0
	v_dot4c_i32_i8_e32 v42, v44, v78
	v_dot4c_i32_i8_e32 v43, v45, v79
	v_mul_f32_e32 v44, 0x3e000000, v39
	s_nop 0
	v_cvt_f32_i32_e32 v42, v42
	v_cvt_f32_i32_e32 v43, v43
	v_pk_fma_f32 v[42:43], v[36:37], v[42:43], v[44:45] op_sel_hi:[0,1,0]
	v_add_f32_e32 v36, v46, v42
	v_add_f32_e32 v39, v36, v43
	v_mov_b32_e32 v36, 0
	v_dot4c_i32_i8_e32 v36, v40, v80
	v_mov_b32_e32 v40, 0
	v_dot4c_i32_i8_e32 v40, v41, v81
	s_nop 2
	v_cvt_f32_i32_e32 v41, v40
	v_cvt_f32_i32_e32 v40, v36
	v_mul_f32_e32 v36, 0x3e000000, v33
	v_pk_fma_f32 v[32:33], v[32:33], v[40:41], v[36:37] op_sel_hi:[0,1,0]
	v_add_f32_e32 v32, v39, v32
	v_add_f32_e32 v32, v32, v33
	ds_bpermute_b32 v33, v129, v32
	v_cndmask_b32_e64 v36, 0, 1, s[36:37]
	v_cmp_ne_u32_e64 s[12:13], 1, v36
	s_waitcnt lgkmcnt(0)
	v_add_f32_e32 v32, v32, v33
	ds_bpermute_b32 v33, v130, v32
	s_waitcnt lgkmcnt(0)
	v_add_f32_e32 v36, v32, v33
	s_cbranch_vccnz .LBB28_25
; %bb.24:                               ;   in Loop: Header=BB28_21 Depth=1
	v_lshl_add_u64 v[32:33], v[90:91], 1, s[26:27]
	global_load_ushort v32, v[32:33], off
	s_waitcnt vmcnt(0)
	v_fma_mix_f32 v36, v127, v32, v36 op_sel_hi:[0,1,0]
.LBB28_25:                              ;   in Loop: Header=BB28_21 Depth=1
	v_lshl_add_u64 v[32:33], s[30:31], 0, v[92:93]
	global_load_dword v39, v[32:33], off
	global_load_dword v40, v[32:33], off offset:20
	global_load_dword v41, v[32:33], off offset:40
	;; [unrolled: 1-line block ×7, first 2 shown]
	v_lshl_add_u64 v[32:33], v[32:33], 0, v[84:85]
	global_load_dword v120, v[32:33], off offset:4
	global_load_dword v121, v[32:33], off offset:24
	;; [unrolled: 1-line block ×8, first 2 shown]
	v_mov_b32_e32 v154, 0
	v_mov_b32_e32 v155, 0
	;; [unrolled: 1-line block ×6, first 2 shown]
	s_andn2_b64 vcc, exec, s[34:35]
	s_waitcnt vmcnt(15)
	v_cvt_f32_f16_e32 v149, v39
	v_cvt_f32_f16_sdwa v148, v39 dst_sel:DWORD dst_unused:UNUSED_PAD src0_sel:WORD_1
	s_waitcnt vmcnt(7)
	v_and_b32_e32 v152, 0xf0f0f0f, v120
	v_lshrrev_b32_e32 v39, 4, v120
	v_cvt_f32_f16_e32 v136, v42
	v_cvt_f32_f16_sdwa v137, v42 dst_sel:DWORD dst_unused:UNUSED_PAD src0_sel:WORD_1
	v_dot4c_i32_i8_e32 v154, v152, v50
	v_cvt_f32_f16_sdwa v144, v40 dst_sel:DWORD dst_unused:UNUSED_PAD src0_sel:WORD_1
	v_cvt_f32_f16_e32 v118, v43
	s_waitcnt vmcnt(0)
	v_and_b32_e32 v42, 0xf0f0f0f, v153
	v_lshrrev_b32_e32 v162, 4, v153
	v_and_b32_e32 v153, 0xf0f0f0f, v39
	v_cvt_f32_f16_sdwa v119, v43 dst_sel:DWORD dst_unused:UNUSED_PAD src0_sel:WORD_1
	v_and_b32_e32 v150, 0xf0f0f0f, v121
	v_lshrrev_b32_e32 v43, 4, v121
	v_cvt_f32_i32_e32 v39, v154
	v_dot4c_i32_i8_e32 v155, v153, v51
	v_cvt_f32_f16_e32 v145, v40
	v_cvt_f32_f16_e32 v141, v41
	v_cvt_f32_f16_sdwa v140, v41 dst_sel:DWORD dst_unused:UNUSED_PAD src0_sel:WORD_1
	v_cvt_f32_f16_e32 v40, v46
	v_cvt_f32_f16_sdwa v41, v46 dst_sel:DWORD dst_unused:UNUSED_PAD src0_sel:WORD_1
	v_and_b32_e32 v146, 0xf0f0f0f, v138
	v_lshrrev_b32_e32 v121, 4, v139
	v_lshrrev_b32_e32 v160, 4, v147
	v_and_b32_e32 v46, 0xf0f0f0f, v151
	v_lshrrev_b32_e32 v161, 4, v151
	v_and_b32_e32 v151, 0xf0f0f0f, v43
	v_dot4c_i32_i8_e32 v156, v150, v52
	v_cvt_f32_i32_e32 v155, v155
	v_cvt_f32_f16_e32 v32, v47
	v_cvt_f32_f16_sdwa v33, v47 dst_sel:DWORD dst_unused:UNUSED_PAD src0_sel:WORD_1
	v_lshrrev_b32_e32 v47, 4, v138
	v_and_b32_e32 v142, 0xf0f0f0f, v139
	v_and_b32_e32 v138, 0xf0f0f0f, v143
	v_lshrrev_b32_e32 v139, 4, v143
	v_and_b32_e32 v143, 0xf0f0f0f, v121
	v_and_b32_e32 v121, 0xf0f0f0f, v160
	v_dot4c_i32_i8_e32 v158, v146, v54
	v_cvt_f32_i32_e32 v154, v156
	v_dot4c_i32_i8_e32 v157, v151, v53
	v_mul_f32_e32 v160, v1, v148
	v_cvt_f32_i32_e32 v156, v158
	v_mul_f32_e32 v158, v0, v149
	v_cvt_f32_i32_e32 v157, v157
	v_mul_f32_e32 v160, 0x3e000000, v160
	v_and_b32_e32 v43, 0xf0f0f0f, v162
	v_mul_f32_e32 v162, v3, v144
	v_fma_f32 v39, v158, v39, v160
	v_and_b32_e32 v120, 0xf0f0f0f, v147
	v_and_b32_e32 v147, 0xf0f0f0f, v47
	;; [unrolled: 1-line block ×3, first 2 shown]
	v_mul_f32_e32 v161, v2, v145
	v_mul_f32_e32 v162, 0x3e000000, v162
	v_add_f32_e32 v39, 0, v39
	v_fmac_f32_e32 v160, v158, v155
	v_mul_f32_e32 v164, v5, v140
	v_fma_f32 v154, v161, v154, v162
	v_add_f32_e32 v39, v39, v160
	v_mul_f32_e32 v163, v4, v141
	v_mul_f32_e32 v164, 0x3e000000, v164
	v_fmac_f32_e32 v162, v161, v157
	v_add_f32_e32 v39, v39, v154
	v_add_f32_e32 v39, v39, v162
	v_fma_f32 v154, v163, v156, v164
	v_dot4c_i32_i8_e32 v159, v147, v55
	v_add_f32_e32 v39, v39, v154
	v_mov_b32_e32 v154, 0
	v_mov_b32_e32 v155, 0
	v_cvt_f32_i32_e32 v159, v159
	v_dot4c_i32_i8_e32 v154, v142, v56
	v_dot4c_i32_i8_e32 v155, v143, v57
	v_mul_f32_e32 v157, v7, v137
	v_fmac_f32_e32 v164, v163, v159
	v_cvt_f32_i32_e32 v154, v154
	v_cvt_f32_i32_e32 v155, v155
	v_mul_f32_e32 v156, v6, v136
	v_mul_f32_e32 v158, 0x3e000000, v157
	v_add_f32_e32 v39, v39, v164
	v_pk_fma_f32 v[154:155], v[156:157], v[154:155], v[158:159] op_sel_hi:[0,1,0]
	v_add_f32_e32 v39, v39, v154
	v_and_b32_e32 v139, 0xf0f0f0f, v139
	v_add_f32_e32 v39, v39, v155
	v_mov_b32_e32 v154, 0
	v_mov_b32_e32 v155, 0
	v_dot4c_i32_i8_e32 v154, v138, v58
	v_dot4c_i32_i8_e32 v155, v139, v59
	v_mul_f32_e32 v157, v9, v119
	v_mul_f32_e32 v156, v8, v118
	v_cvt_f32_i32_e32 v154, v154
	v_cvt_f32_i32_e32 v155, v155
	v_mul_f32_e32 v158, 0x3e000000, v157
	v_cvt_f32_f16_e32 v44, v45
	v_cvt_f32_f16_sdwa v45, v45 dst_sel:DWORD dst_unused:UNUSED_PAD src0_sel:WORD_1
	v_pk_fma_f32 v[154:155], v[156:157], v[154:155], v[158:159] op_sel_hi:[0,1,0]
	v_add_f32_e32 v39, v39, v154
	v_add_f32_e32 v39, v39, v155
	v_mov_b32_e32 v154, 0
	v_mov_b32_e32 v155, 0
	v_dot4c_i32_i8_e32 v154, v120, v60
	v_dot4c_i32_i8_e32 v155, v121, v61
	v_mul_f32_e32 v157, v11, v45
	v_mul_f32_e32 v156, v10, v44
	v_cvt_f32_i32_e32 v154, v154
	v_cvt_f32_i32_e32 v155, v155
	v_mul_f32_e32 v158, 0x3e000000, v157
	v_pk_fma_f32 v[154:155], v[156:157], v[154:155], v[158:159] op_sel_hi:[0,1,0]
	v_add_f32_e32 v39, v39, v154
	v_add_f32_e32 v39, v39, v155
	v_mov_b32_e32 v154, 0
	v_mov_b32_e32 v155, 0
	v_dot4c_i32_i8_e32 v154, v46, v62
	v_dot4c_i32_i8_e32 v155, v47, v63
	v_mul_f32_e32 v157, v13, v41
	v_mul_f32_e32 v156, v12, v40
	v_cvt_f32_i32_e32 v154, v154
	v_cvt_f32_i32_e32 v155, v155
	v_mul_f32_e32 v158, 0x3e000000, v157
	;; [unrolled: 12-line block ×3, first 2 shown]
	v_pk_fma_f32 v[154:155], v[156:157], v[154:155], v[158:159] op_sel_hi:[0,1,0]
	v_add_f32_e32 v39, v39, v154
	v_add_f32_e32 v39, v39, v155
	ds_bpermute_b32 v154, v129, v39
	v_cndmask_b32_e64 v155, 0, 1, s[34:35]
	v_cmp_ne_u32_e64 s[14:15], 1, v155
	s_waitcnt lgkmcnt(0)
	v_add_f32_e32 v39, v39, v154
	ds_bpermute_b32 v154, v130, v39
	s_waitcnt lgkmcnt(0)
	v_add_f32_e32 v39, v39, v154
	s_cbranch_vccnz .LBB28_27
; %bb.26:                               ;   in Loop: Header=BB28_21 Depth=1
	global_load_ushort v154, v38, s[26:27] offset:2
	s_waitcnt vmcnt(0)
	v_fma_mix_f32 v39, v127, v154, v39 op_sel_hi:[0,1,0]
.LBB28_27:                              ;   in Loop: Header=BB28_21 Depth=1
	v_mov_b32_e32 v154, 0
	v_dot4c_i32_i8_e32 v154, v152, v66
	v_mul_f32_e32 v148, v17, v148
	v_mul_f32_e32 v149, v16, v149
	;; [unrolled: 1-line block ×3, first 2 shown]
	v_cvt_f32_i32_e32 v152, v154
	v_mov_b32_e32 v154, 0
	v_dot4c_i32_i8_e32 v154, v153, v67
	v_mul_f32_e32 v144, v19, v144
	v_fma_f32 v152, v149, v152, v148
	v_mul_f32_e32 v145, v18, v145
	v_cvt_f32_i32_e32 v153, v154
	v_mul_f32_e32 v144, 0x3e000000, v144
	v_add_f32_e32 v152, 0, v152
	v_mul_f32_e32 v140, v21, v140
	v_fmac_f32_e32 v148, v149, v153
	v_mov_b32_e32 v149, 0
	v_dot4c_i32_i8_e32 v149, v150, v68
	v_mov_b32_e32 v150, 0
	v_dot4c_i32_i8_e32 v150, v151, v69
	v_add_f32_e32 v148, v152, v148
	v_cvt_f32_i32_e32 v149, v149
	v_mul_f32_e32 v141, v20, v141
	v_cvt_f32_i32_e32 v150, v150
	v_mul_f32_e32 v140, 0x3e000000, v140
	v_fma_f32 v149, v145, v149, v144
	v_add_f32_e32 v148, v148, v149
	v_fmac_f32_e32 v144, v145, v150
	v_mov_b32_e32 v145, 0
	v_dot4c_i32_i8_e32 v145, v146, v70
	v_mov_b32_e32 v146, 0
	v_dot4c_i32_i8_e32 v146, v147, v71
	v_add_f32_e32 v144, v148, v144
	v_cvt_f32_i32_e32 v145, v145
	v_mul_f32_e32 v137, v23, v137
	v_cvt_f32_i32_e32 v146, v146
	v_mul_f32_e32 v136, v22, v136
	v_fma_f32 v145, v141, v145, v140
	v_add_f32_e32 v144, v144, v145
	v_fmac_f32_e32 v140, v141, v146
	v_add_f32_e32 v144, v144, v140
	v_mov_b32_e32 v140, 0
	v_mov_b32_e32 v141, 0
	v_dot4c_i32_i8_e32 v140, v142, v72
	v_dot4c_i32_i8_e32 v141, v143, v73
	v_mul_f32_e32 v142, 0x3e000000, v137
	v_mul_f32_e32 v119, v25, v119
	v_cvt_f32_i32_e32 v140, v140
	v_cvt_f32_i32_e32 v141, v141
	v_mul_f32_e32 v118, v24, v118
	v_mul_f32_e32 v45, v27, v45
	;; [unrolled: 1-line block ×3, first 2 shown]
	v_pk_fma_f32 v[136:137], v[136:137], v[140:141], v[142:143] op_sel_hi:[0,1,0]
	v_add_f32_e32 v136, v144, v136
	v_add_f32_e32 v140, v136, v137
	v_mov_b32_e32 v136, 0
	v_mov_b32_e32 v137, 0
	v_dot4c_i32_i8_e32 v136, v138, v74
	v_dot4c_i32_i8_e32 v137, v139, v75
	v_mul_f32_e32 v138, 0x3e000000, v119
	v_mul_f32_e32 v41, v29, v41
	v_cvt_f32_i32_e32 v136, v136
	v_cvt_f32_i32_e32 v137, v137
	v_mul_f32_e32 v40, v28, v40
	v_mul_f32_e32 v33, v31, v33
	;; [unrolled: 1-line block ×3, first 2 shown]
	v_pk_fma_f32 v[118:119], v[118:119], v[136:137], v[138:139] op_sel_hi:[0,1,0]
	v_add_f32_e32 v118, v140, v118
	v_add_f32_e32 v136, v118, v119
	v_mov_b32_e32 v118, 0
	v_mov_b32_e32 v119, 0
	v_dot4c_i32_i8_e32 v118, v120, v76
	v_dot4c_i32_i8_e32 v119, v121, v77
	v_mul_f32_e32 v120, 0x3e000000, v45
	s_and_b64 vcc, exec, s[12:13]
	v_cvt_f32_i32_e32 v118, v118
	v_cvt_f32_i32_e32 v119, v119
	v_pk_fma_f32 v[44:45], v[44:45], v[118:119], v[120:121] op_sel_hi:[0,1,0]
	v_add_f32_e32 v44, v136, v44
	v_add_f32_e32 v118, v44, v45
	v_mov_b32_e32 v44, 0
	v_mov_b32_e32 v45, 0
	v_dot4c_i32_i8_e32 v44, v46, v78
	v_dot4c_i32_i8_e32 v45, v47, v79
	v_mul_f32_e32 v46, 0x3e000000, v41
	s_nop 0
	v_cvt_f32_i32_e32 v44, v44
	v_cvt_f32_i32_e32 v45, v45
	v_pk_fma_f32 v[40:41], v[40:41], v[44:45], v[46:47] op_sel_hi:[0,1,0]
	v_add_f32_e32 v40, v118, v40
	v_add_f32_e32 v44, v40, v41
	v_mov_b32_e32 v40, 0
	v_mov_b32_e32 v41, 0
	v_dot4c_i32_i8_e32 v40, v42, v80
	v_dot4c_i32_i8_e32 v41, v43, v81
	v_mul_f32_e32 v42, 0x3e000000, v33
	s_nop 0
	v_cvt_f32_i32_e32 v40, v40
	v_cvt_f32_i32_e32 v41, v41
	v_pk_fma_f32 v[32:33], v[32:33], v[40:41], v[42:43] op_sel_hi:[0,1,0]
	v_add_f32_e32 v32, v44, v32
	v_add_f32_e32 v32, v32, v33
	ds_bpermute_b32 v33, v129, v32
	s_waitcnt lgkmcnt(0)
	v_add_f32_e32 v32, v32, v33
	ds_bpermute_b32 v33, v130, v32
	s_waitcnt lgkmcnt(0)
	v_add_f32_e32 v40, v32, v33
	v_lshl_add_u64 v[32:33], v[114:115], 1, s[26:27]
	s_cbranch_vccnz .LBB28_29
; %bb.28:                               ;   in Loop: Header=BB28_21 Depth=1
	global_load_ushort v41, v[32:33], off offset:2
	s_waitcnt vmcnt(0)
	v_fma_mix_f32 v40, v127, v41, v40 op_sel_hi:[0,1,0]
.LBB28_29:                              ;   in Loop: Header=BB28_21 Depth=1
	v_lshl_add_u64 v[158:159], s[30:31], 0, v[94:95]
	v_lshl_add_u64 v[42:43], v[158:159], 0, v[84:85]
	global_load_dword v41, v[42:43], off offset:4
	global_load_dword v44, v[158:159], off
	v_mov_b32_e32 v160, 0
	v_mov_b32_e32 v161, 0
	s_and_b64 vcc, exec, s[14:15]
	s_waitcnt vmcnt(1)
	v_and_b32_e32 v153, 0xf0f0f0f, v41
	v_lshrrev_b32_e32 v41, 4, v41
	v_and_b32_e32 v154, 0xf0f0f0f, v41
	global_load_dword v41, v[42:43], off offset:24
	s_waitcnt vmcnt(1)
	v_cvt_f32_f16_e32 v157, v44
	v_cvt_f32_f16_sdwa v156, v44 dst_sel:DWORD dst_unused:UNUSED_PAD src0_sel:WORD_1
	global_load_dword v44, v[158:159], off offset:20
	v_dot4c_i32_i8_e32 v160, v154, v51
	s_waitcnt vmcnt(1)
	v_and_b32_e32 v148, 0xf0f0f0f, v41
	v_lshrrev_b32_e32 v41, 4, v41
	v_and_b32_e32 v150, 0xf0f0f0f, v41
	global_load_dword v41, v[42:43], off offset:44
	s_waitcnt vmcnt(1)
	v_cvt_f32_f16_e32 v155, v44
	v_cvt_f32_f16_sdwa v152, v44 dst_sel:DWORD dst_unused:UNUSED_PAD src0_sel:WORD_1
	global_load_dword v44, v[158:159], off offset:40
	v_cvt_f32_i32_e32 v160, v160
	s_waitcnt vmcnt(1)
	v_and_b32_e32 v145, 0xf0f0f0f, v41
	v_lshrrev_b32_e32 v41, 4, v41
	v_and_b32_e32 v147, 0xf0f0f0f, v41
	global_load_dword v41, v[42:43], off offset:64
	s_waitcnt vmcnt(1)
	v_cvt_f32_f16_e32 v151, v44
	v_cvt_f32_f16_sdwa v149, v44 dst_sel:DWORD dst_unused:UNUSED_PAD src0_sel:WORD_1
	global_load_dword v44, v[158:159], off offset:60
	s_waitcnt vmcnt(1)
	v_and_b32_e32 v141, 0xf0f0f0f, v41
	v_lshrrev_b32_e32 v41, 4, v41
	v_and_b32_e32 v146, 0xf0f0f0f, v41
	global_load_dword v41, v[42:43], off offset:84
	s_waitcnt vmcnt(1)
	v_cvt_f32_f16_e32 v142, v44
	v_cvt_f32_f16_sdwa v143, v44 dst_sel:DWORD dst_unused:UNUSED_PAD src0_sel:WORD_1
	global_load_dword v44, v[158:159], off offset:80
	v_dot4c_i32_i8_e32 v161, v146, v57
	s_waitcnt vmcnt(1)
	v_and_b32_e32 v137, 0xf0f0f0f, v41
	v_lshrrev_b32_e32 v41, 4, v41
	v_and_b32_e32 v144, 0xf0f0f0f, v41
	global_load_dword v41, v[42:43], off offset:104
	s_waitcnt vmcnt(1)
	v_cvt_f32_f16_e32 v138, v44
	v_cvt_f32_f16_sdwa v139, v44 dst_sel:DWORD dst_unused:UNUSED_PAD src0_sel:WORD_1
	global_load_dword v44, v[158:159], off offset:100
	v_cvt_f32_i32_e32 v163, v161
	s_waitcnt vmcnt(1)
	v_and_b32_e32 v119, 0xf0f0f0f, v41
	v_lshrrev_b32_e32 v41, 4, v41
	v_and_b32_e32 v140, 0xf0f0f0f, v41
	global_load_dword v41, v[42:43], off offset:124
	s_waitcnt vmcnt(1)
	v_cvt_f32_f16_e32 v120, v44
	v_cvt_f32_f16_sdwa v121, v44 dst_sel:DWORD dst_unused:UNUSED_PAD src0_sel:WORD_1
	global_load_dword v44, v[158:159], off offset:120
	s_waitcnt vmcnt(1)
	v_and_b32_e32 v45, 0xf0f0f0f, v41
	v_lshrrev_b32_e32 v41, 4, v41
	v_and_b32_e32 v136, 0xf0f0f0f, v41
	global_load_dword v41, v[42:43], off offset:144
	s_waitcnt vmcnt(1)
	v_cvt_f32_f16_e32 v46, v44
	v_cvt_f32_f16_sdwa v47, v44 dst_sel:DWORD dst_unused:UNUSED_PAD src0_sel:WORD_1
	global_load_dword v44, v[158:159], off offset:140
	v_mul_f32_e32 v159, v1, v156
	v_mul_f32_e32 v158, v0, v157
	;; [unrolled: 1-line block ×3, first 2 shown]
	s_waitcnt vmcnt(1)
	v_and_b32_e32 v42, 0xf0f0f0f, v41
	v_lshrrev_b32_e32 v41, 4, v41
	v_and_b32_e32 v118, 0xf0f0f0f, v41
	v_mov_b32_e32 v41, 0
	v_dot4c_i32_i8_e32 v41, v153, v50
	s_waitcnt vmcnt(0)
	v_cvt_f32_f16_e32 v43, v44
	v_cvt_f32_f16_sdwa v44, v44 dst_sel:DWORD dst_unused:UNUSED_PAD src0_sel:WORD_1
	v_cvt_f32_i32_e32 v41, v41
	v_fma_f32 v41, v158, v41, v159
	v_fmac_f32_e32 v159, v158, v160
	v_mov_b32_e32 v158, 0
	v_dot4c_i32_i8_e32 v158, v148, v52
	v_add_f32_e32 v41, 0, v41
	v_mul_f32_e32 v160, v3, v152
	v_add_f32_e32 v41, v41, v159
	v_cvt_f32_i32_e32 v158, v158
	v_mul_f32_e32 v159, v2, v155
	v_mul_f32_e32 v160, 0x3e000000, v160
	v_fma_f32 v158, v159, v158, v160
	v_add_f32_e32 v41, v41, v158
	v_mov_b32_e32 v158, 0
	v_dot4c_i32_i8_e32 v158, v150, v53
	s_nop 2
	v_cvt_f32_i32_e32 v158, v158
	v_fmac_f32_e32 v160, v159, v158
	v_mov_b32_e32 v158, 0
	v_dot4c_i32_i8_e32 v158, v145, v54
	v_add_f32_e32 v41, v41, v160
	v_mul_f32_e32 v160, v5, v149
	v_mul_f32_e32 v159, v4, v151
	v_cvt_f32_i32_e32 v158, v158
	v_mul_f32_e32 v160, 0x3e000000, v160
	v_fma_f32 v158, v159, v158, v160
	v_add_f32_e32 v41, v41, v158
	v_mov_b32_e32 v158, 0
	v_dot4c_i32_i8_e32 v158, v147, v55
	s_nop 2
	v_cvt_f32_i32_e32 v158, v158
	v_fmac_f32_e32 v160, v159, v158
	v_mov_b32_e32 v159, 0
	v_dot4c_i32_i8_e32 v159, v141, v56
	v_add_f32_e32 v41, v41, v160
	v_mul_f32_e32 v160, v7, v143
	v_mul_f32_e32 v158, v6, v142
	v_cvt_f32_i32_e32 v162, v159
	v_mul_f32_e32 v160, 0x3e000000, v160
	v_pk_fma_f32 v[158:159], v[158:159], v[162:163], v[160:161] op_sel_hi:[0,1,0]
	v_add_f32_e32 v41, v41, v158
	v_add_f32_e32 v41, v41, v159
	v_mov_b32_e32 v159, 0
	v_mov_b32_e32 v161, 0
	v_dot4c_i32_i8_e32 v159, v137, v58
	v_dot4c_i32_i8_e32 v161, v144, v59
	v_mul_f32_e32 v160, v9, v139
	v_mul_f32_e32 v158, v8, v138
	v_cvt_f32_i32_e32 v162, v159
	v_cvt_f32_i32_e32 v163, v161
	v_mul_f32_e32 v160, 0x3e000000, v160
	v_pk_fma_f32 v[158:159], v[158:159], v[162:163], v[160:161] op_sel_hi:[0,1,0]
	v_add_f32_e32 v41, v41, v158
	v_add_f32_e32 v41, v41, v159
	v_mov_b32_e32 v159, 0
	v_mov_b32_e32 v161, 0
	v_dot4c_i32_i8_e32 v159, v119, v60
	v_dot4c_i32_i8_e32 v161, v140, v61
	v_mul_f32_e32 v160, v11, v121
	v_mul_f32_e32 v158, v10, v120
	v_cvt_f32_i32_e32 v162, v159
	;; [unrolled: 12-line block ×4, first 2 shown]
	v_cvt_f32_i32_e32 v163, v161
	v_mul_f32_e32 v160, 0x3e000000, v160
	v_pk_fma_f32 v[158:159], v[158:159], v[162:163], v[160:161] op_sel_hi:[0,1,0]
	v_add_f32_e32 v41, v41, v158
	v_add_f32_e32 v41, v41, v159
	ds_bpermute_b32 v158, v129, v41
	s_waitcnt lgkmcnt(0)
	v_add_f32_e32 v41, v41, v158
	ds_bpermute_b32 v158, v130, v41
	s_waitcnt lgkmcnt(0)
	v_add_f32_e32 v41, v41, v158
	s_cbranch_vccnz .LBB28_31
; %bb.30:                               ;   in Loop: Header=BB28_21 Depth=1
	global_load_ushort v158, v38, s[26:27] offset:4
	s_waitcnt vmcnt(0)
	v_fma_mix_f32 v41, v127, v158, v41 op_sel_hi:[0,1,0]
.LBB28_31:                              ;   in Loop: Header=BB28_21 Depth=1
	v_mov_b32_e32 v158, 0
	v_dot4c_i32_i8_e32 v158, v153, v66
	v_mul_f32_e32 v153, v16, v157
	v_mul_f32_e32 v156, v17, v156
	;; [unrolled: 1-line block ×3, first 2 shown]
	v_cvt_f32_i32_e32 v157, v158
	v_mov_b32_e32 v158, 0
	v_dot4c_i32_i8_e32 v158, v154, v67
	v_mul_f32_e32 v152, v19, v152
	v_fma_f32 v157, v153, v157, v156
	v_mul_f32_e32 v152, 0x3e000000, v152
	v_cvt_f32_i32_e32 v154, v158
	v_add_f32_e32 v157, 0, v157
	v_mul_f32_e32 v149, v21, v149
	v_mul_f32_e32 v149, 0x3e000000, v149
	v_fmac_f32_e32 v156, v153, v154
	v_mov_b32_e32 v154, 0
	v_dot4c_i32_i8_e32 v154, v148, v68
	v_mul_f32_e32 v148, v18, v155
	v_mov_b32_e32 v155, 0
	v_dot4c_i32_i8_e32 v155, v150, v69
	v_cvt_f32_i32_e32 v154, v154
	v_add_f32_e32 v153, v157, v156
	v_mul_f32_e32 v142, v22, v142
	v_cvt_f32_i32_e32 v150, v155
	v_fma_f32 v154, v148, v154, v152
	v_add_f32_e32 v153, v153, v154
	v_mul_f32_e32 v138, v24, v138
	v_fmac_f32_e32 v152, v148, v150
	v_mov_b32_e32 v150, 0
	v_dot4c_i32_i8_e32 v150, v145, v70
	v_mul_f32_e32 v145, v20, v151
	v_mov_b32_e32 v151, 0
	v_dot4c_i32_i8_e32 v151, v147, v71
	v_cvt_f32_i32_e32 v150, v150
	v_add_f32_e32 v148, v153, v152
	v_mul_f32_e32 v120, v26, v120
	v_cvt_f32_i32_e32 v147, v151
	v_fma_f32 v150, v145, v150, v149
	v_add_f32_e32 v148, v148, v150
	v_mul_f32_e32 v46, v28, v46
	v_fmac_f32_e32 v149, v145, v147
	v_add_f32_e32 v145, v148, v149
	v_mov_b32_e32 v148, 0
	v_dot4c_i32_i8_e32 v148, v141, v72
	v_mov_b32_e32 v141, 0
	v_dot4c_i32_i8_e32 v141, v146, v73
	s_and_b64 vcc, exec, s[12:13]
	v_cvt_f32_i32_e32 v146, v148
	s_nop 0
	v_cvt_f32_i32_e32 v147, v141
	v_mul_f32_e32 v141, v23, v143
	v_mul_f32_e32 v148, 0x3e000000, v141
	v_pk_fma_f32 v[142:143], v[142:143], v[146:147], v[148:149] op_sel_hi:[0,1,0]
	v_add_f32_e32 v141, v145, v142
	v_mov_b32_e32 v142, 0
	v_dot4c_i32_i8_e32 v142, v137, v74
	v_mov_b32_e32 v137, 0
	v_dot4c_i32_i8_e32 v137, v144, v75
	v_add_f32_e32 v141, v141, v143
	v_cvt_f32_i32_e32 v142, v142
	s_nop 0
	v_cvt_f32_i32_e32 v143, v137
	v_mul_f32_e32 v137, v25, v139
	v_mul_f32_e32 v144, 0x3e000000, v137
	v_pk_fma_f32 v[138:139], v[138:139], v[142:143], v[144:145] op_sel_hi:[0,1,0]
	v_add_f32_e32 v137, v141, v138
	v_mov_b32_e32 v138, 0
	v_dot4c_i32_i8_e32 v138, v119, v76
	v_mov_b32_e32 v119, 0
	v_dot4c_i32_i8_e32 v119, v140, v77
	v_add_f32_e32 v137, v137, v139
	;; [unrolled: 12-line block ×4, first 2 shown]
	v_cvt_f32_i32_e32 v46, v46
	s_nop 0
	v_cvt_f32_i32_e32 v47, v42
	v_mul_f32_e32 v42, v30, v43
	v_mul_f32_e32 v43, v31, v44
	v_mul_f32_e32 v44, 0x3e000000, v43
	v_pk_fma_f32 v[42:43], v[42:43], v[46:47], v[44:45] op_sel_hi:[0,1,0]
	v_add_f32_e32 v42, v45, v42
	v_add_f32_e32 v42, v42, v43
	ds_bpermute_b32 v43, v129, v42
	s_waitcnt lgkmcnt(0)
	v_add_f32_e32 v42, v42, v43
	ds_bpermute_b32 v43, v130, v42
	s_waitcnt lgkmcnt(0)
	v_add_f32_e32 v42, v42, v43
	s_cbranch_vccnz .LBB28_33
; %bb.32:                               ;   in Loop: Header=BB28_21 Depth=1
	global_load_ushort v43, v[32:33], off offset:4
	s_waitcnt vmcnt(0)
	v_fma_mix_f32 v42, v127, v43, v42 op_sel_hi:[0,1,0]
.LBB28_33:                              ;   in Loop: Header=BB28_21 Depth=1
	v_lshl_add_u64 v[44:45], s[30:31], 0, v[96:97]
	v_lshl_add_u64 v[160:161], v[44:45], 0, v[84:85]
	global_load_dword v43, v[160:161], off offset:4
	global_load_dword v46, v[44:45], off
	global_load_dword v118, v[44:45], off offset:120
	global_load_dword v119, v[160:161], off offset:144
	v_mov_b32_e32 v159, 0
	v_mov_b32_e32 v162, 0
	;; [unrolled: 1-line block ×3, first 2 shown]
	s_and_b64 vcc, exec, s[14:15]
	s_waitcnt vmcnt(2)
	v_cvt_f32_f16_e32 v158, v46
	v_cvt_f32_f16_sdwa v157, v46 dst_sel:DWORD dst_unused:UNUSED_PAD src0_sel:WORD_1
	global_load_dword v46, v[44:45], off offset:20
	v_and_b32_e32 v154, 0xf0f0f0f, v43
	v_lshrrev_b32_e32 v43, 4, v43
	v_and_b32_e32 v155, 0xf0f0f0f, v43
	global_load_dword v43, v[160:161], off offset:24
	v_dot4c_i32_i8_e32 v159, v154, v50
	v_dot4c_i32_i8_e32 v162, v155, v51
	s_waitcnt vmcnt(3)
	v_cvt_f32_f16_e32 v47, v118
	v_cvt_f32_f16_sdwa v118, v118 dst_sel:DWORD dst_unused:UNUSED_PAD src0_sel:WORD_1
	v_cvt_f32_i32_e32 v159, v159
	v_cvt_f32_i32_e32 v162, v162
	s_waitcnt vmcnt(1)
	v_cvt_f32_f16_e32 v156, v46
	v_cvt_f32_f16_sdwa v153, v46 dst_sel:DWORD dst_unused:UNUSED_PAD src0_sel:WORD_1
	global_load_dword v46, v[44:45], off offset:40
	s_waitcnt vmcnt(1)
	v_and_b32_e32 v149, 0xf0f0f0f, v43
	v_lshrrev_b32_e32 v43, 4, v43
	v_and_b32_e32 v151, 0xf0f0f0f, v43
	global_load_dword v43, v[160:161], off offset:44
	s_waitcnt vmcnt(1)
	v_cvt_f32_f16_e32 v152, v46
	v_cvt_f32_f16_sdwa v150, v46 dst_sel:DWORD dst_unused:UNUSED_PAD src0_sel:WORD_1
	global_load_dword v46, v[44:45], off offset:60
	s_waitcnt vmcnt(1)
	v_and_b32_e32 v146, 0xf0f0f0f, v43
	v_lshrrev_b32_e32 v43, 4, v43
	v_and_b32_e32 v148, 0xf0f0f0f, v43
	global_load_dword v43, v[160:161], off offset:64
	;; [unrolled: 9-line block ×3, first 2 shown]
	v_dot4c_i32_i8_e32 v163, v147, v57
	s_waitcnt vmcnt(1)
	v_cvt_f32_f16_e32 v139, v46
	v_cvt_f32_f16_sdwa v140, v46 dst_sel:DWORD dst_unused:UNUSED_PAD src0_sel:WORD_1
	global_load_dword v46, v[44:45], off offset:100
	v_cvt_f32_i32_e32 v165, v163
	global_load_dword v45, v[44:45], off offset:140
	s_waitcnt vmcnt(2)
	v_and_b32_e32 v138, 0xf0f0f0f, v43
	v_lshrrev_b32_e32 v43, 4, v43
	v_and_b32_e32 v145, 0xf0f0f0f, v43
	global_load_dword v43, v[160:161], off offset:104
	s_waitcnt vmcnt(2)
	v_cvt_f32_f16_sdwa v136, v46 dst_sel:DWORD dst_unused:UNUSED_PAD src0_sel:WORD_1
	v_cvt_f32_f16_e32 v121, v46
	s_waitcnt vmcnt(1)
	v_cvt_f32_f16_e32 v44, v45
	v_cvt_f32_f16_sdwa v45, v45 dst_sel:DWORD dst_unused:UNUSED_PAD src0_sel:WORD_1
	s_waitcnt vmcnt(0)
	v_and_b32_e32 v120, 0xf0f0f0f, v43
	v_lshrrev_b32_e32 v43, 4, v43
	v_and_b32_e32 v141, 0xf0f0f0f, v43
	global_load_dword v43, v[160:161], off offset:124
	v_mul_f32_e32 v161, v1, v157
	v_mul_f32_e32 v160, v0, v158
	;; [unrolled: 1-line block ×3, first 2 shown]
	v_fma_f32 v159, v160, v159, v161
	v_fmac_f32_e32 v161, v160, v162
	v_mov_b32_e32 v160, 0
	v_dot4c_i32_i8_e32 v160, v149, v52
	v_add_f32_e32 v159, 0, v159
	v_mul_f32_e32 v162, v3, v153
	v_add_f32_e32 v159, v159, v161
	v_cvt_f32_i32_e32 v160, v160
	v_mul_f32_e32 v161, v2, v156
	v_mul_f32_e32 v162, 0x3e000000, v162
	v_fma_f32 v160, v161, v160, v162
	v_add_f32_e32 v159, v159, v160
	v_mov_b32_e32 v160, 0
	v_dot4c_i32_i8_e32 v160, v151, v53
	s_waitcnt vmcnt(0)
	v_and_b32_e32 v46, 0xf0f0f0f, v43
	s_nop 0
	v_cvt_f32_i32_e32 v160, v160
	v_lshrrev_b32_e32 v43, 4, v43
	v_and_b32_e32 v137, 0xf0f0f0f, v43
	v_and_b32_e32 v43, 0xf0f0f0f, v119
	v_fmac_f32_e32 v162, v161, v160
	v_mov_b32_e32 v160, 0
	v_dot4c_i32_i8_e32 v160, v146, v54
	v_add_f32_e32 v159, v159, v162
	v_mul_f32_e32 v162, v5, v150
	v_mul_f32_e32 v161, v4, v152
	v_cvt_f32_i32_e32 v160, v160
	v_mul_f32_e32 v162, 0x3e000000, v162
	v_lshrrev_b32_e32 v119, 4, v119
	v_and_b32_e32 v119, 0xf0f0f0f, v119
	v_fma_f32 v160, v161, v160, v162
	v_add_f32_e32 v159, v159, v160
	v_mov_b32_e32 v160, 0
	v_dot4c_i32_i8_e32 v160, v148, v55
	s_nop 2
	v_cvt_f32_i32_e32 v160, v160
	v_fmac_f32_e32 v162, v161, v160
	v_mov_b32_e32 v161, 0
	v_dot4c_i32_i8_e32 v161, v142, v56
	v_add_f32_e32 v159, v159, v162
	v_mul_f32_e32 v162, v7, v144
	v_mul_f32_e32 v160, v6, v143
	v_cvt_f32_i32_e32 v164, v161
	v_mul_f32_e32 v162, 0x3e000000, v162
	v_pk_fma_f32 v[160:161], v[160:161], v[164:165], v[162:163] op_sel_hi:[0,1,0]
	v_add_f32_e32 v159, v159, v160
	v_add_f32_e32 v159, v159, v161
	v_mov_b32_e32 v161, 0
	v_mov_b32_e32 v163, 0
	v_dot4c_i32_i8_e32 v161, v138, v58
	v_dot4c_i32_i8_e32 v163, v145, v59
	v_mul_f32_e32 v162, v9, v140
	v_mul_f32_e32 v160, v8, v139
	v_cvt_f32_i32_e32 v164, v161
	v_cvt_f32_i32_e32 v165, v163
	v_mul_f32_e32 v162, 0x3e000000, v162
	v_pk_fma_f32 v[160:161], v[160:161], v[164:165], v[162:163] op_sel_hi:[0,1,0]
	v_add_f32_e32 v159, v159, v160
	v_add_f32_e32 v159, v159, v161
	v_mov_b32_e32 v161, 0
	v_mov_b32_e32 v163, 0
	v_dot4c_i32_i8_e32 v161, v120, v60
	v_dot4c_i32_i8_e32 v163, v141, v61
	v_mul_f32_e32 v162, v11, v136
	v_mul_f32_e32 v160, v10, v121
	v_cvt_f32_i32_e32 v164, v161
	;; [unrolled: 12-line block ×4, first 2 shown]
	v_cvt_f32_i32_e32 v165, v163
	v_mul_f32_e32 v162, 0x3e000000, v162
	v_pk_fma_f32 v[160:161], v[160:161], v[164:165], v[162:163] op_sel_hi:[0,1,0]
	v_add_f32_e32 v159, v159, v160
	v_add_f32_e32 v159, v159, v161
	ds_bpermute_b32 v160, v129, v159
	s_waitcnt lgkmcnt(0)
	v_add_f32_e32 v159, v159, v160
	ds_bpermute_b32 v160, v130, v159
	s_waitcnt lgkmcnt(0)
	v_add_f32_e32 v159, v159, v160
	s_cbranch_vccnz .LBB28_35
; %bb.34:                               ;   in Loop: Header=BB28_21 Depth=1
	global_load_ushort v38, v38, s[26:27] offset:6
	s_waitcnt vmcnt(0)
	v_fma_mix_f32 v159, v127, v38, v159 op_sel_hi:[0,1,0]
.LBB28_35:                              ;   in Loop: Header=BB28_21 Depth=1
	v_mov_b32_e32 v38, 0
	v_dot4c_i32_i8_e32 v38, v154, v66
	v_mul_f32_e32 v154, v16, v158
	v_mov_b32_e32 v158, 0
	v_dot4c_i32_i8_e32 v158, v155, v67
	v_cvt_f32_i32_e32 v38, v38
	v_mul_f32_e32 v157, v17, v157
	v_mul_f32_e32 v157, 0x3e000000, v157
	v_cvt_f32_i32_e32 v155, v158
	v_fma_f32 v38, v154, v38, v157
	v_mul_f32_e32 v153, v19, v153
	v_mul_f32_e32 v153, 0x3e000000, v153
	v_fmac_f32_e32 v157, v154, v155
	v_mov_b32_e32 v154, 0
	v_mov_b32_e32 v155, 0
	v_dot4c_i32_i8_e32 v154, v149, v68
	v_dot4c_i32_i8_e32 v155, v151, v69
	v_mul_f32_e32 v149, v18, v156
	v_add_f32_e32 v38, 0, v38
	v_cvt_f32_i32_e32 v154, v154
	v_cvt_f32_i32_e32 v151, v155
	v_add_f32_e32 v38, v38, v157
	v_mul_f32_e32 v150, v21, v150
	v_fma_f32 v154, v149, v154, v153
	v_fmac_f32_e32 v153, v149, v151
	v_mov_b32_e32 v149, 0
	v_dot4c_i32_i8_e32 v149, v146, v70
	v_mov_b32_e32 v151, 0
	v_dot4c_i32_i8_e32 v151, v148, v71
	v_add_f32_e32 v38, v38, v154
	v_cvt_f32_i32_e32 v149, v149
	v_mul_f32_e32 v146, v20, v152
	v_cvt_f32_i32_e32 v148, v151
	v_mul_f32_e32 v150, 0x3e000000, v150
	v_add_f32_e32 v38, v38, v153
	v_fma_f32 v149, v146, v149, v150
	v_add_f32_e32 v38, v38, v149
	v_fmac_f32_e32 v150, v146, v148
	v_add_f32_e32 v148, v38, v150
	v_mov_b32_e32 v38, 0
	v_dot4c_i32_i8_e32 v38, v142, v72
	v_mov_b32_e32 v142, 0
	v_dot4c_i32_i8_e32 v142, v147, v73
	s_and_b64 vcc, exec, s[12:13]
	v_cvt_f32_i32_e32 v146, v38
	v_mul_f32_e32 v38, v22, v143
	v_cvt_f32_i32_e32 v147, v142
	v_mul_f32_e32 v142, v23, v144
	v_mul_f32_e32 v142, 0x3e000000, v142
	v_pk_fma_f32 v[142:143], v[38:39], v[146:147], v[142:143] op_sel_hi:[0,1,0]
	v_add_f32_e32 v38, v148, v142
	v_add_f32_e32 v144, v38, v143
	v_mov_b32_e32 v38, 0
	v_dot4c_i32_i8_e32 v38, v138, v74
	v_mov_b32_e32 v138, 0
	v_dot4c_i32_i8_e32 v138, v145, v75
	s_nop 0
	v_cvt_f32_i32_e32 v142, v38
	v_mul_f32_e32 v38, v24, v139
	v_cvt_f32_i32_e32 v143, v138
	v_mul_f32_e32 v138, v25, v140
	v_mul_f32_e32 v138, 0x3e000000, v138
	v_pk_fma_f32 v[138:139], v[38:39], v[142:143], v[138:139] op_sel_hi:[0,1,0]
	v_add_f32_e32 v38, v144, v138
	v_add_f32_e32 v140, v38, v139
	v_mov_b32_e32 v38, 0
	v_dot4c_i32_i8_e32 v38, v120, v76
	v_mov_b32_e32 v120, 0
	v_dot4c_i32_i8_e32 v120, v141, v77
	s_nop 0
	;; [unrolled: 13-line block ×4, first 2 shown]
	v_cvt_f32_i32_e32 v46, v38
	v_mul_f32_e32 v38, v30, v44
	v_cvt_f32_i32_e32 v47, v43
	v_mul_f32_e32 v43, v31, v45
	v_mul_f32_e32 v44, 0x3e000000, v43
	v_pk_fma_f32 v[44:45], v[38:39], v[46:47], v[44:45] op_sel_hi:[0,1,0]
	v_add_f32_e32 v38, v118, v44
	v_add_f32_e32 v38, v38, v45
	ds_bpermute_b32 v43, v129, v38
	s_waitcnt lgkmcnt(0)
	v_add_f32_e32 v38, v38, v43
	ds_bpermute_b32 v43, v130, v38
	s_waitcnt lgkmcnt(0)
	v_add_f32_e32 v38, v38, v43
	s_cbranch_vccnz .LBB28_37
; %bb.36:                               ;   in Loop: Header=BB28_21 Depth=1
	global_load_ushort v32, v[32:33], off offset:6
	s_waitcnt vmcnt(0)
	v_fma_mix_f32 v38, v127, v32, v38 op_sel_hi:[0,1,0]
.LBB28_37:                              ;   in Loop: Header=BB28_21 Depth=1
	v_cndmask_b32_e64 v32, v116, v35, s[4:5]
	v_cndmask_b32_e64 v33, v117, v36, s[4:5]
	v_cndmask_b32_e64 v32, v32, v39, s[6:7]
	v_add_f32_e32 v35, 0x40051340, v35
	v_add_f32_e32 v39, 0x40051340, v39
	v_cndmask_b32_e64 v33, v33, v40, s[6:7]
	v_cndmask_b32_e64 v32, v32, v41, s[8:9]
	v_max3_f32 v35, v34, v35, v39
	v_add_f32_e32 v39, 0x40051340, v41
	v_add_f32_e32 v41, 0x40051340, v159
	v_cndmask_b32_e64 v33, v33, v42, s[8:9]
	v_max3_f32 v35, v35, v39, v41
	v_cndmask_b32_e64 v43, v33, v38, s[10:11]
	ds_bpermute_b32 v33, v131, v35
	v_add_f32_e32 v36, 0x40051340, v36
	v_add_f32_e32 v39, 0x40051340, v40
	v_max3_f32 v36, v37, v36, v39
	v_add_f32_e32 v39, 0x40051340, v42
	s_waitcnt lgkmcnt(0)
	v_max_f32_e32 v33, v33, v33
	v_max_f32_e32 v33, v35, v33
	ds_bpermute_b32 v35, v132, v33
	v_add_f32_e32 v40, 0x40051340, v38
	v_max3_f32 v42, v36, v39, v40
	v_cndmask_b32_e64 v32, v32, v159, s[10:11]
	s_add_i32 s22, s24, s22
	s_waitcnt lgkmcnt(0)
	v_max_f32_e32 v35, v35, v35
	v_max_f32_e32 v33, v33, v35
	ds_bpermute_b32 v35, v133, v33
	s_add_u32 s30, s30, s2
	s_addc_u32 s31, s31, 0
	scratch_load_dwordx4 v[38:41], off, off offset:16
	scratch_load_dwordx4 v[136:139], off, off offset:112
	s_waitcnt lgkmcnt(0)
	v_max_f32_e32 v35, v35, v35
	v_max_f32_e32 v118, v33, v35
	v_sub_f32_e32 v33, v34, v118
	v_mul_f32_e32 v34, 0x3fb8aa3b, v33
	v_fma_f32 v35, v33, s38, -v34
	v_rndne_f32_e32 v36, v34
	v_fmac_f32_e32 v35, 0x32a5705f, v33
	v_sub_f32_e32 v34, v34, v36
	v_add_f32_e32 v34, v34, v35
	v_exp_f32_e32 v34, v34
	v_cvt_i32_f32_e32 v35, v36
	v_cmp_ngt_f32_e32 vcc, s39, v33
	v_sub_f32_e32 v32, v32, v118
	v_ldexp_f32 v34, v34, v35
	v_cndmask_b32_e32 v34, 0, v34, vcc
	v_cmp_nlt_f32_e32 vcc, s40, v33
	v_mul_f32_e32 v33, 0x3fb8aa3b, v32
	v_rndne_f32_e32 v35, v33
	v_cndmask_b32_e32 v36, v83, v34, vcc
	v_fma_f32 v34, v32, s38, -v33
	v_fmac_f32_e32 v34, 0x32a5705f, v32
	v_sub_f32_e32 v33, v33, v35
	v_add_f32_e32 v33, v33, v34
	v_exp_f32_e32 v33, v33
	v_cvt_i32_f32_e32 v34, v35
	v_cmp_ngt_f32_e32 vcc, s39, v32
	v_ldexp_f32 v33, v33, v34
	s_nop 0
	v_cndmask_b32_e32 v33, 0, v33, vcc
	v_cmp_nlt_f32_e32 vcc, s40, v32
	s_nop 1
	v_cndmask_b32_e32 v116, v83, v33, vcc
	v_cvt_f16_f32_e32 v32, v116
	ds_write_b16 v124, v32
	v_cvt_f16_f32_e32 v32, v36
	v_mul_u32_u24_e32 v44, 0x10001, v32
	scratch_load_dwordx4 v[32:35], off, off
	s_waitcnt vmcnt(2)
	v_pk_mul_f16 v38, v38, v44
	v_pk_mul_f16 v39, v39, v44
	;; [unrolled: 1-line block ×4, first 2 shown]
	scratch_store_dwordx4 off, v[38:41], off offset:16
	scratch_load_dwordx4 v[38:41], off, off offset:32
	s_waitcnt vmcnt(2)
	v_pk_mul_f16 v32, v32, v44
	v_pk_mul_f16 v33, v33, v44
	v_pk_mul_f16 v34, v34, v44
	v_pk_mul_f16 v35, v35, v44
	scratch_store_dwordx4 off, v[32:35], off
	s_waitcnt vmcnt(1)
	v_pk_mul_f16 v38, v38, v44
	v_pk_mul_f16 v39, v39, v44
	v_pk_mul_f16 v40, v40, v44
	v_pk_mul_f16 v41, v41, v44
	scratch_store_dwordx4 off, v[38:41], off offset:32
	scratch_load_dwordx4 v[38:41], off, off offset:48
	s_waitcnt vmcnt(0)
	v_pk_mul_f16 v38, v38, v44
	v_pk_mul_f16 v39, v39, v44
	;; [unrolled: 1-line block ×4, first 2 shown]
	scratch_store_dwordx4 off, v[38:41], off offset:48
	ds_bpermute_b32 v38, v131, v42
	s_waitcnt lgkmcnt(0)
	v_max_f32_e32 v38, v38, v38
	v_max_f32_e32 v38, v42, v38
	ds_bpermute_b32 v39, v132, v38
	s_waitcnt lgkmcnt(0)
	v_max_f32_e32 v39, v39, v39
	v_max_f32_e32 v38, v38, v39
	;; [unrolled: 4-line block ×3, first 2 shown]
	v_sub_f32_e32 v37, v37, v119
	v_mul_f32_e32 v38, 0x3fb8aa3b, v37
	v_cmp_ngt_f32_e32 vcc, s39, v37
	v_fma_f32 v39, v37, s38, -v38
	v_rndne_f32_e32 v40, v38
	v_fmac_f32_e32 v39, 0x32a5705f, v37
	v_sub_f32_e32 v38, v38, v40
	v_add_f32_e32 v38, v38, v39
	v_cvt_i32_f32_e32 v39, v40
	v_exp_f32_e32 v38, v38
	s_nop 0
	v_ldexp_f32 v38, v38, v39
	v_cndmask_b32_e32 v38, 0, v38, vcc
	v_cmp_nlt_f32_e32 vcc, s40, v37
	s_nop 1
	v_cndmask_b32_e32 v37, v83, v38, vcc
	v_sub_f32_e32 v38, v43, v119
	v_mul_f32_e32 v39, 0x3fb8aa3b, v38
	v_cmp_ngt_f32_e32 vcc, s39, v38
	v_fma_f32 v40, v38, s38, -v39
	v_rndne_f32_e32 v41, v39
	v_fmac_f32_e32 v40, 0x32a5705f, v38
	v_sub_f32_e32 v39, v39, v41
	v_add_f32_e32 v39, v39, v40
	v_cvt_i32_f32_e32 v40, v41
	v_exp_f32_e32 v39, v39
	s_nop 0
	v_ldexp_f32 v39, v39, v40
	v_cndmask_b32_e32 v39, 0, v39, vcc
	v_cmp_nlt_f32_e32 vcc, s40, v38
	s_nop 1
	v_cndmask_b32_e32 v117, v83, v39, vcc
	v_pk_fma_f32 v[48:49], v[48:49], v[36:37], v[116:117]
	v_cvt_f16_f32_e32 v36, v117
	ds_write_b16 v124, v36 offset:256
	v_cvt_f16_f32_e32 v36, v37
	v_mul_u32_u24_e32 v120, 0x10001, v36
	scratch_load_dwordx4 v[36:39], off, off offset:64
	v_pk_mul_f16 v136, v136, v120
	v_pk_mul_f16 v137, v137, v120
	v_pk_mul_f16 v138, v138, v120
	v_pk_mul_f16 v139, v139, v120
	scratch_store_dwordx4 off, v[136:139], off offset:112
	s_waitcnt vmcnt(1)
	v_pk_mul_f16 v44, v36, v120
	v_pk_mul_f16 v45, v37, v120
	;; [unrolled: 1-line block ×4, first 2 shown]
	scratch_load_dwordx4 v[36:39], off, off offset:80
	s_waitcnt vmcnt(0)
	v_pk_mul_f16 v40, v36, v120
	v_pk_mul_f16 v41, v37, v120
	v_pk_mul_f16 v42, v38, v120
	v_pk_mul_f16 v43, v39, v120
	scratch_load_dwordx4 v[36:39], off, off offset:96
	s_waitcnt vmcnt(0)
	v_pk_mul_f16 v36, v36, v120
	v_pk_mul_f16 v37, v37, v120
	;; [unrolled: 1-line block ×4, first 2 shown]
	ds_read_u16 v120, v134
	scratch_store_dwordx4 off, v[44:47], off offset:64
	scratch_store_dwordx4 off, v[40:43], off offset:80
	;; [unrolled: 1-line block ×3, first 2 shown]
	s_waitcnt lgkmcnt(0)
	v_mul_u32_u24_e32 v136, 0x10001, v120
	ds_read_u16 v120, v134 offset:256
	s_waitcnt lgkmcnt(0)
	v_mul_u32_u24_e32 v137, 0x10001, v120
	v_lshl_add_u64 v[120:121], s[28:29], 0, v[98:99]
	v_lshl_add_u64 v[120:121], v[120:121], 0, v[86:87]
	global_load_dwordx4 v[138:141], v[120:121], off
	s_waitcnt vmcnt(0)
	v_lshlrev_b32_e32 v142, 16, v138
	v_and_b32_e32 v138, 0xffff0000, v138
	v_lshlrev_b32_e32 v143, 16, v139
	v_and_b32_e32 v139, 0xffff0000, v139
	;; [unrolled: 2-line block ×4, first 2 shown]
	v_cvt_pk_f16_f32 v138, v142, v138
	v_cvt_pk_f16_f32 v139, v143, v139
	;; [unrolled: 1-line block ×4, first 2 shown]
	v_pk_fma_f16 v32, v138, v136, v32
	v_pk_fma_f16 v33, v139, v136, v33
	;; [unrolled: 1-line block ×4, first 2 shown]
	scratch_store_dwordx4 off, v[32:35], off
	global_load_dwordx4 v[32:35], v[120:121], off offset:128
	v_pk_fma_f16 v44, v138, v137, v44
	v_pk_fma_f16 v45, v139, v137, v45
	;; [unrolled: 1-line block ×4, first 2 shown]
	scratch_store_dwordx4 off, v[44:47], off offset:64
	s_waitcnt vmcnt(1)
	s_nop 0
	v_lshlrev_b32_e32 v44, 16, v32
	v_and_b32_e32 v32, 0xffff0000, v32
	v_lshlrev_b32_e32 v45, 16, v33
	v_and_b32_e32 v33, 0xffff0000, v33
	;; [unrolled: 2-line block ×4, first 2 shown]
	v_cvt_pk_f16_f32 v44, v44, v32
	v_cvt_pk_f16_f32 v45, v45, v33
	;; [unrolled: 1-line block ×4, first 2 shown]
	scratch_load_dwordx4 v[32:35], off, off offset:16
	v_pk_fma_f16 v40, v44, v137, v40
	v_pk_fma_f16 v41, v45, v137, v41
	;; [unrolled: 1-line block ×4, first 2 shown]
	scratch_store_dwordx4 off, v[40:43], off offset:80
	s_waitcnt vmcnt(1)
	v_pk_fma_f16 v32, v44, v136, v32
	v_pk_fma_f16 v33, v45, v136, v33
	;; [unrolled: 1-line block ×4, first 2 shown]
	scratch_store_dwordx4 off, v[32:35], off offset:16
	global_load_dwordx4 v[32:35], v[120:121], off offset:256
	s_waitcnt vmcnt(0)
	v_lshlrev_b32_e32 v40, 16, v32
	v_and_b32_e32 v32, 0xffff0000, v32
	v_lshlrev_b32_e32 v41, 16, v33
	v_and_b32_e32 v33, 0xffff0000, v33
	v_lshlrev_b32_e32 v42, 16, v34
	v_and_b32_e32 v34, 0xffff0000, v34
	v_lshlrev_b32_e32 v43, 16, v35
	v_and_b32_e32 v35, 0xffff0000, v35
	v_cvt_pk_f16_f32 v40, v40, v32
	v_cvt_pk_f16_f32 v41, v41, v33
	;; [unrolled: 1-line block ×4, first 2 shown]
	scratch_load_dwordx4 v[32:35], off, off offset:32
	v_pk_fma_f16 v36, v40, v137, v36
	v_pk_fma_f16 v37, v41, v137, v37
	;; [unrolled: 1-line block ×4, first 2 shown]
	scratch_store_dwordx4 off, v[36:39], off offset:96
	s_waitcnt vmcnt(1)
	v_pk_fma_f16 v32, v40, v136, v32
	v_pk_fma_f16 v33, v41, v136, v33
	;; [unrolled: 1-line block ×4, first 2 shown]
	scratch_store_dwordx4 off, v[32:35], off offset:32
	global_load_dwordx4 v[32:35], v[120:121], off offset:384
	s_waitcnt vmcnt(0)
	v_lshlrev_b32_e32 v36, 16, v32
	v_and_b32_e32 v32, 0xffff0000, v32
	v_lshlrev_b32_e32 v37, 16, v33
	v_and_b32_e32 v33, 0xffff0000, v33
	;; [unrolled: 2-line block ×4, first 2 shown]
	v_cvt_pk_f16_f32 v40, v36, v32
	v_cvt_pk_f16_f32 v41, v37, v33
	;; [unrolled: 1-line block ×4, first 2 shown]
	scratch_load_dwordx4 v[32:35], off, off offset:48
	scratch_load_dwordx4 v[36:39], off, off offset:112
	s_waitcnt vmcnt(1)
	v_pk_fma_f16 v32, v40, v136, v32
	v_pk_fma_f16 v33, v41, v136, v33
	;; [unrolled: 1-line block ×4, first 2 shown]
	scratch_store_dwordx4 off, v[32:35], off offset:48
	s_waitcnt vmcnt(1)
	v_pk_fma_f16 v36, v40, v137, v36
	v_pk_fma_f16 v37, v41, v137, v37
	v_lshl_add_u64 v[34:35], s[28:29], 0, v[100:101]
	v_pk_fma_f16 v38, v42, v137, v38
	v_pk_fma_f16 v39, v43, v137, v39
	v_lshl_add_u64 v[42:43], v[34:35], 0, v[86:87]
	scratch_store_dwordx4 off, v[36:39], off offset:112
	global_load_dwordx4 v[34:37], v[42:43], off
	ds_read_u16 v32, v135 offset:8
	ds_read_u16 v33, v135 offset:264
	s_waitcnt lgkmcnt(1)
	v_mul_u32_u24_e32 v32, 0x10001, v32
	s_waitcnt lgkmcnt(0)
	v_mul_u32_u24_e32 v33, 0x10001, v33
	s_waitcnt vmcnt(0)
	v_lshlrev_b32_e32 v38, 16, v34
	v_and_b32_e32 v34, 0xffff0000, v34
	v_lshlrev_b32_e32 v39, 16, v35
	v_and_b32_e32 v35, 0xffff0000, v35
	;; [unrolled: 2-line block ×4, first 2 shown]
	v_cvt_pk_f16_f32 v44, v38, v34
	v_cvt_pk_f16_f32 v45, v39, v35
	;; [unrolled: 1-line block ×4, first 2 shown]
	scratch_load_dwordx4 v[34:37], off, off
	scratch_load_dwordx4 v[38:41], off, off offset:64
	s_waitcnt vmcnt(1)
	v_pk_fma_f16 v34, v44, v32, v34
	v_pk_fma_f16 v35, v45, v32, v35
	;; [unrolled: 1-line block ×4, first 2 shown]
	scratch_store_dwordx4 off, v[34:37], off
	global_load_dwordx4 v[34:37], v[42:43], off offset:128
	s_waitcnt vmcnt(2)
	v_pk_fma_f16 v38, v44, v33, v38
	v_pk_fma_f16 v39, v45, v33, v39
	;; [unrolled: 1-line block ×4, first 2 shown]
	scratch_store_dwordx4 off, v[38:41], off offset:64
	s_waitcnt vmcnt(1)
	s_nop 0
	v_lshlrev_b32_e32 v38, 16, v34
	v_and_b32_e32 v34, 0xffff0000, v34
	v_lshlrev_b32_e32 v39, 16, v35
	v_and_b32_e32 v35, 0xffff0000, v35
	;; [unrolled: 2-line block ×4, first 2 shown]
	v_cvt_pk_f16_f32 v44, v38, v34
	v_cvt_pk_f16_f32 v45, v39, v35
	;; [unrolled: 1-line block ×4, first 2 shown]
	scratch_load_dwordx4 v[34:37], off, off offset:16
	scratch_load_dwordx4 v[38:41], off, off offset:80
	s_waitcnt vmcnt(1)
	v_pk_fma_f16 v34, v44, v32, v34
	v_pk_fma_f16 v35, v45, v32, v35
	;; [unrolled: 1-line block ×4, first 2 shown]
	scratch_store_dwordx4 off, v[34:37], off offset:16
	global_load_dwordx4 v[34:37], v[42:43], off offset:256
	s_waitcnt vmcnt(2)
	v_pk_fma_f16 v38, v44, v33, v38
	v_pk_fma_f16 v39, v45, v33, v39
	;; [unrolled: 1-line block ×4, first 2 shown]
	scratch_store_dwordx4 off, v[38:41], off offset:80
	s_waitcnt vmcnt(1)
	s_nop 0
	v_lshlrev_b32_e32 v38, 16, v34
	v_and_b32_e32 v34, 0xffff0000, v34
	v_lshlrev_b32_e32 v39, 16, v35
	v_and_b32_e32 v35, 0xffff0000, v35
	;; [unrolled: 2-line block ×4, first 2 shown]
	v_cvt_pk_f16_f32 v44, v38, v34
	v_cvt_pk_f16_f32 v45, v39, v35
	;; [unrolled: 1-line block ×4, first 2 shown]
	scratch_load_dwordx4 v[34:37], off, off offset:32
	scratch_load_dwordx4 v[38:41], off, off offset:96
	s_waitcnt vmcnt(1)
	v_pk_fma_f16 v34, v44, v32, v34
	v_pk_fma_f16 v35, v45, v32, v35
	;; [unrolled: 1-line block ×4, first 2 shown]
	scratch_store_dwordx4 off, v[34:37], off offset:32
	global_load_dwordx4 v[34:37], v[42:43], off offset:384
	s_waitcnt vmcnt(2)
	v_pk_fma_f16 v38, v44, v33, v38
	v_pk_fma_f16 v39, v45, v33, v39
	;; [unrolled: 1-line block ×4, first 2 shown]
	scratch_store_dwordx4 off, v[38:41], off offset:96
	s_waitcnt vmcnt(1)
	s_nop 0
	v_lshlrev_b32_e32 v38, 16, v34
	v_and_b32_e32 v34, 0xffff0000, v34
	v_lshlrev_b32_e32 v39, 16, v35
	v_and_b32_e32 v35, 0xffff0000, v35
	;; [unrolled: 2-line block ×4, first 2 shown]
	v_cvt_pk_f16_f32 v42, v38, v34
	v_cvt_pk_f16_f32 v43, v39, v35
	;; [unrolled: 1-line block ×4, first 2 shown]
	scratch_load_dwordx4 v[34:37], off, off offset:48
	scratch_load_dwordx4 v[38:41], off, off offset:112
	s_waitcnt vmcnt(1)
	v_pk_fma_f16 v34, v42, v32, v34
	v_pk_fma_f16 v35, v43, v32, v35
	;; [unrolled: 1-line block ×4, first 2 shown]
	ds_read_u16 v32, v135 offset:16
	s_waitcnt vmcnt(0)
	v_pk_fma_f16 v38, v42, v33, v38
	v_pk_fma_f16 v39, v43, v33, v39
	;; [unrolled: 1-line block ×4, first 2 shown]
	s_waitcnt lgkmcnt(0)
	v_mul_u32_u24_e32 v42, 0x10001, v32
	ds_read_u16 v32, v135 offset:272
	scratch_store_dwordx4 off, v[38:41], off offset:112
	scratch_store_dwordx4 off, v[34:37], off offset:48
	s_waitcnt lgkmcnt(0)
	v_mul_u32_u24_e32 v43, 0x10001, v32
	v_lshl_add_u64 v[32:33], s[28:29], 0, v[102:103]
	v_lshl_add_u64 v[40:41], v[32:33], 0, v[86:87]
	global_load_dwordx4 v[32:35], v[40:41], off
	s_waitcnt vmcnt(0)
	v_lshlrev_b32_e32 v36, 16, v32
	v_and_b32_e32 v32, 0xffff0000, v32
	v_lshlrev_b32_e32 v37, 16, v33
	v_and_b32_e32 v33, 0xffff0000, v33
	v_lshlrev_b32_e32 v38, 16, v34
	v_and_b32_e32 v34, 0xffff0000, v34
	v_lshlrev_b32_e32 v39, 16, v35
	v_and_b32_e32 v35, 0xffff0000, v35
	v_cvt_pk_f16_f32 v44, v36, v32
	v_cvt_pk_f16_f32 v45, v37, v33
	;; [unrolled: 1-line block ×4, first 2 shown]
	scratch_load_dwordx4 v[32:35], off, off
	scratch_load_dwordx4 v[36:39], off, off offset:64
	s_waitcnt vmcnt(1)
	v_pk_fma_f16 v32, v44, v42, v32
	v_pk_fma_f16 v33, v45, v42, v33
	;; [unrolled: 1-line block ×4, first 2 shown]
	scratch_store_dwordx4 off, v[32:35], off
	global_load_dwordx4 v[32:35], v[40:41], off offset:128
	s_waitcnt vmcnt(2)
	v_pk_fma_f16 v36, v44, v43, v36
	v_pk_fma_f16 v37, v45, v43, v37
	v_pk_fma_f16 v38, v46, v43, v38
	v_pk_fma_f16 v39, v47, v43, v39
	scratch_store_dwordx4 off, v[36:39], off offset:64
	s_waitcnt vmcnt(1)
	s_nop 0
	v_lshlrev_b32_e32 v36, 16, v32
	v_and_b32_e32 v32, 0xffff0000, v32
	v_lshlrev_b32_e32 v37, 16, v33
	v_and_b32_e32 v33, 0xffff0000, v33
	v_lshlrev_b32_e32 v38, 16, v34
	v_and_b32_e32 v34, 0xffff0000, v34
	v_lshlrev_b32_e32 v39, 16, v35
	v_and_b32_e32 v35, 0xffff0000, v35
	v_cvt_pk_f16_f32 v44, v36, v32
	v_cvt_pk_f16_f32 v45, v37, v33
	v_cvt_pk_f16_f32 v46, v38, v34
	v_cvt_pk_f16_f32 v47, v39, v35
	scratch_load_dwordx4 v[32:35], off, off offset:16
	scratch_load_dwordx4 v[36:39], off, off offset:80
	s_waitcnt vmcnt(1)
	v_pk_fma_f16 v32, v44, v42, v32
	v_pk_fma_f16 v33, v45, v42, v33
	v_pk_fma_f16 v34, v46, v42, v34
	v_pk_fma_f16 v35, v47, v42, v35
	scratch_store_dwordx4 off, v[32:35], off offset:16
	global_load_dwordx4 v[32:35], v[40:41], off offset:256
	s_waitcnt vmcnt(2)
	v_pk_fma_f16 v36, v44, v43, v36
	v_pk_fma_f16 v37, v45, v43, v37
	v_pk_fma_f16 v38, v46, v43, v38
	v_pk_fma_f16 v39, v47, v43, v39
	scratch_store_dwordx4 off, v[36:39], off offset:80
	s_waitcnt vmcnt(1)
	s_nop 0
	v_lshlrev_b32_e32 v36, 16, v32
	v_and_b32_e32 v32, 0xffff0000, v32
	v_lshlrev_b32_e32 v37, 16, v33
	v_and_b32_e32 v33, 0xffff0000, v33
	v_lshlrev_b32_e32 v38, 16, v34
	v_and_b32_e32 v34, 0xffff0000, v34
	v_lshlrev_b32_e32 v39, 16, v35
	v_and_b32_e32 v35, 0xffff0000, v35
	v_cvt_pk_f16_f32 v44, v36, v32
	v_cvt_pk_f16_f32 v45, v37, v33
	v_cvt_pk_f16_f32 v46, v38, v34
	v_cvt_pk_f16_f32 v47, v39, v35
	scratch_load_dwordx4 v[32:35], off, off offset:32
	scratch_load_dwordx4 v[36:39], off, off offset:96
	s_waitcnt vmcnt(1)
	v_pk_fma_f16 v32, v44, v42, v32
	v_pk_fma_f16 v33, v45, v42, v33
	v_pk_fma_f16 v34, v46, v42, v34
	v_pk_fma_f16 v35, v47, v42, v35
	scratch_store_dwordx4 off, v[32:35], off offset:32
	;; [unrolled: 29-line block ×3, first 2 shown]
	ds_read_u16 v32, v135 offset:24
	s_waitcnt vmcnt(1)
	v_pk_fma_f16 v36, v40, v43, v36
	v_pk_fma_f16 v37, v41, v43, v37
	;; [unrolled: 1-line block ×4, first 2 shown]
	s_waitcnt lgkmcnt(0)
	v_mul_u32_u24_e32 v42, 0x10001, v32
	ds_read_u16 v32, v135 offset:280
	scratch_store_dwordx4 off, v[36:39], off offset:112
	s_waitcnt lgkmcnt(0)
	v_mul_u32_u24_e32 v43, 0x10001, v32
	v_lshl_add_u64 v[32:33], s[28:29], 0, v[104:105]
	v_lshl_add_u64 v[40:41], v[32:33], 0, v[86:87]
	global_load_dwordx4 v[32:35], v[40:41], off
	s_waitcnt vmcnt(0)
	v_lshlrev_b32_e32 v36, 16, v32
	v_and_b32_e32 v32, 0xffff0000, v32
	v_lshlrev_b32_e32 v37, 16, v33
	v_and_b32_e32 v33, 0xffff0000, v33
	;; [unrolled: 2-line block ×4, first 2 shown]
	v_cvt_pk_f16_f32 v44, v36, v32
	v_cvt_pk_f16_f32 v45, v37, v33
	;; [unrolled: 1-line block ×4, first 2 shown]
	scratch_load_dwordx4 v[32:35], off, off
	scratch_load_dwordx4 v[36:39], off, off offset:64
	s_waitcnt vmcnt(1)
	v_pk_fma_f16 v32, v44, v42, v32
	v_pk_fma_f16 v33, v45, v42, v33
	;; [unrolled: 1-line block ×4, first 2 shown]
	scratch_store_dwordx4 off, v[32:35], off
	global_load_dwordx4 v[32:35], v[40:41], off offset:128
	s_waitcnt vmcnt(2)
	v_pk_fma_f16 v36, v44, v43, v36
	v_pk_fma_f16 v37, v45, v43, v37
	v_pk_fma_f16 v38, v46, v43, v38
	v_pk_fma_f16 v39, v47, v43, v39
	scratch_store_dwordx4 off, v[36:39], off offset:64
	s_waitcnt vmcnt(1)
	s_nop 0
	v_lshlrev_b32_e32 v36, 16, v32
	v_and_b32_e32 v32, 0xffff0000, v32
	v_lshlrev_b32_e32 v37, 16, v33
	v_and_b32_e32 v33, 0xffff0000, v33
	v_lshlrev_b32_e32 v38, 16, v34
	v_and_b32_e32 v34, 0xffff0000, v34
	v_lshlrev_b32_e32 v39, 16, v35
	v_and_b32_e32 v35, 0xffff0000, v35
	v_cvt_pk_f16_f32 v44, v36, v32
	v_cvt_pk_f16_f32 v45, v37, v33
	v_cvt_pk_f16_f32 v46, v38, v34
	v_cvt_pk_f16_f32 v47, v39, v35
	scratch_load_dwordx4 v[32:35], off, off offset:16
	scratch_load_dwordx4 v[36:39], off, off offset:80
	s_waitcnt vmcnt(1)
	v_pk_fma_f16 v32, v44, v42, v32
	v_pk_fma_f16 v33, v45, v42, v33
	v_pk_fma_f16 v34, v46, v42, v34
	v_pk_fma_f16 v35, v47, v42, v35
	scratch_store_dwordx4 off, v[32:35], off offset:16
	global_load_dwordx4 v[32:35], v[40:41], off offset:256
	s_waitcnt vmcnt(2)
	v_pk_fma_f16 v36, v44, v43, v36
	v_pk_fma_f16 v37, v45, v43, v37
	v_pk_fma_f16 v38, v46, v43, v38
	v_pk_fma_f16 v39, v47, v43, v39
	scratch_store_dwordx4 off, v[36:39], off offset:80
	s_waitcnt vmcnt(1)
	s_nop 0
	v_lshlrev_b32_e32 v36, 16, v32
	v_and_b32_e32 v32, 0xffff0000, v32
	v_lshlrev_b32_e32 v37, 16, v33
	v_and_b32_e32 v33, 0xffff0000, v33
	v_lshlrev_b32_e32 v38, 16, v34
	v_and_b32_e32 v34, 0xffff0000, v34
	v_lshlrev_b32_e32 v39, 16, v35
	v_and_b32_e32 v35, 0xffff0000, v35
	v_cvt_pk_f16_f32 v44, v36, v32
	v_cvt_pk_f16_f32 v45, v37, v33
	v_cvt_pk_f16_f32 v46, v38, v34
	v_cvt_pk_f16_f32 v47, v39, v35
	scratch_load_dwordx4 v[32:35], off, off offset:32
	scratch_load_dwordx4 v[36:39], off, off offset:96
	s_waitcnt vmcnt(1)
	v_pk_fma_f16 v32, v44, v42, v32
	v_pk_fma_f16 v33, v45, v42, v33
	v_pk_fma_f16 v34, v46, v42, v34
	v_pk_fma_f16 v35, v47, v42, v35
	scratch_store_dwordx4 off, v[32:35], off offset:32
	;; [unrolled: 29-line block ×3, first 2 shown]
	ds_read_u16 v32, v134 offset:32
	s_waitcnt vmcnt(1)
	v_pk_fma_f16 v36, v40, v43, v36
	v_pk_fma_f16 v37, v41, v43, v37
	;; [unrolled: 1-line block ×4, first 2 shown]
	s_waitcnt lgkmcnt(0)
	v_mul_u32_u24_e32 v42, 0x10001, v32
	ds_read_u16 v32, v134 offset:288
	scratch_store_dwordx4 off, v[36:39], off offset:112
	s_waitcnt lgkmcnt(0)
	v_mul_u32_u24_e32 v43, 0x10001, v32
	v_lshl_add_u64 v[32:33], s[28:29], 0, v[106:107]
	v_lshl_add_u64 v[40:41], v[32:33], 0, v[86:87]
	global_load_dwordx4 v[32:35], v[40:41], off
	s_waitcnt vmcnt(0)
	v_lshlrev_b32_e32 v36, 16, v32
	v_and_b32_e32 v32, 0xffff0000, v32
	v_lshlrev_b32_e32 v37, 16, v33
	v_and_b32_e32 v33, 0xffff0000, v33
	;; [unrolled: 2-line block ×4, first 2 shown]
	v_cvt_pk_f16_f32 v44, v36, v32
	v_cvt_pk_f16_f32 v45, v37, v33
	;; [unrolled: 1-line block ×4, first 2 shown]
	scratch_load_dwordx4 v[32:35], off, off
	scratch_load_dwordx4 v[36:39], off, off offset:64
	s_waitcnt vmcnt(1)
	v_pk_fma_f16 v32, v44, v42, v32
	v_pk_fma_f16 v33, v45, v42, v33
	;; [unrolled: 1-line block ×4, first 2 shown]
	scratch_store_dwordx4 off, v[32:35], off
	global_load_dwordx4 v[32:35], v[40:41], off offset:128
	s_waitcnt vmcnt(2)
	v_pk_fma_f16 v36, v44, v43, v36
	v_pk_fma_f16 v37, v45, v43, v37
	v_pk_fma_f16 v38, v46, v43, v38
	v_pk_fma_f16 v39, v47, v43, v39
	scratch_store_dwordx4 off, v[36:39], off offset:64
	s_waitcnt vmcnt(1)
	s_nop 0
	v_lshlrev_b32_e32 v36, 16, v32
	v_and_b32_e32 v32, 0xffff0000, v32
	v_lshlrev_b32_e32 v37, 16, v33
	v_and_b32_e32 v33, 0xffff0000, v33
	v_lshlrev_b32_e32 v38, 16, v34
	v_and_b32_e32 v34, 0xffff0000, v34
	v_lshlrev_b32_e32 v39, 16, v35
	v_and_b32_e32 v35, 0xffff0000, v35
	v_cvt_pk_f16_f32 v44, v36, v32
	v_cvt_pk_f16_f32 v45, v37, v33
	v_cvt_pk_f16_f32 v46, v38, v34
	v_cvt_pk_f16_f32 v47, v39, v35
	scratch_load_dwordx4 v[32:35], off, off offset:16
	scratch_load_dwordx4 v[36:39], off, off offset:80
	s_waitcnt vmcnt(1)
	v_pk_fma_f16 v32, v44, v42, v32
	v_pk_fma_f16 v33, v45, v42, v33
	v_pk_fma_f16 v34, v46, v42, v34
	v_pk_fma_f16 v35, v47, v42, v35
	scratch_store_dwordx4 off, v[32:35], off offset:16
	global_load_dwordx4 v[32:35], v[40:41], off offset:256
	s_waitcnt vmcnt(2)
	v_pk_fma_f16 v36, v44, v43, v36
	v_pk_fma_f16 v37, v45, v43, v37
	v_pk_fma_f16 v38, v46, v43, v38
	v_pk_fma_f16 v39, v47, v43, v39
	scratch_store_dwordx4 off, v[36:39], off offset:80
	s_waitcnt vmcnt(1)
	s_nop 0
	v_lshlrev_b32_e32 v36, 16, v32
	v_and_b32_e32 v32, 0xffff0000, v32
	v_lshlrev_b32_e32 v37, 16, v33
	v_and_b32_e32 v33, 0xffff0000, v33
	v_lshlrev_b32_e32 v38, 16, v34
	v_and_b32_e32 v34, 0xffff0000, v34
	v_lshlrev_b32_e32 v39, 16, v35
	v_and_b32_e32 v35, 0xffff0000, v35
	v_cvt_pk_f16_f32 v44, v36, v32
	v_cvt_pk_f16_f32 v45, v37, v33
	v_cvt_pk_f16_f32 v46, v38, v34
	v_cvt_pk_f16_f32 v47, v39, v35
	scratch_load_dwordx4 v[32:35], off, off offset:32
	scratch_load_dwordx4 v[36:39], off, off offset:96
	s_waitcnt vmcnt(1)
	v_pk_fma_f16 v32, v44, v42, v32
	v_pk_fma_f16 v33, v45, v42, v33
	v_pk_fma_f16 v34, v46, v42, v34
	v_pk_fma_f16 v35, v47, v42, v35
	scratch_store_dwordx4 off, v[32:35], off offset:32
	;; [unrolled: 29-line block ×3, first 2 shown]
	ds_read_u16 v32, v135 offset:40
	s_waitcnt vmcnt(1)
	v_pk_fma_f16 v36, v40, v43, v36
	v_pk_fma_f16 v37, v41, v43, v37
	;; [unrolled: 1-line block ×4, first 2 shown]
	s_waitcnt lgkmcnt(0)
	v_mul_u32_u24_e32 v34, 0x10001, v32
	ds_read_u16 v32, v135 offset:296
	scratch_store_dwordx4 off, v[36:39], off offset:112
	s_waitcnt lgkmcnt(0)
	v_mul_u32_u24_e32 v35, 0x10001, v32
	v_lshl_add_u64 v[32:33], s[28:29], 0, v[108:109]
	v_lshl_add_u64 v[32:33], v[32:33], 0, v[86:87]
	global_load_dwordx4 v[36:39], v[32:33], off
	s_waitcnt vmcnt(0)
	v_lshlrev_b32_e32 v40, 16, v36
	v_and_b32_e32 v36, 0xffff0000, v36
	v_lshlrev_b32_e32 v41, 16, v37
	v_and_b32_e32 v37, 0xffff0000, v37
	;; [unrolled: 2-line block ×4, first 2 shown]
	v_cvt_pk_f16_f32 v44, v40, v36
	v_cvt_pk_f16_f32 v45, v41, v37
	;; [unrolled: 1-line block ×4, first 2 shown]
	scratch_load_dwordx4 v[36:39], off, off
	scratch_load_dwordx4 v[40:43], off, off offset:64
	s_waitcnt vmcnt(1)
	v_pk_fma_f16 v36, v44, v34, v36
	v_pk_fma_f16 v37, v45, v34, v37
	;; [unrolled: 1-line block ×4, first 2 shown]
	scratch_store_dwordx4 off, v[36:39], off
	global_load_dwordx4 v[36:39], v[32:33], off offset:128
	s_waitcnt vmcnt(2)
	v_pk_fma_f16 v40, v44, v35, v40
	v_pk_fma_f16 v41, v45, v35, v41
	;; [unrolled: 1-line block ×4, first 2 shown]
	scratch_store_dwordx4 off, v[40:43], off offset:64
	s_waitcnt vmcnt(1)
	s_nop 0
	v_lshlrev_b32_e32 v40, 16, v36
	v_and_b32_e32 v36, 0xffff0000, v36
	v_lshlrev_b32_e32 v41, 16, v37
	v_and_b32_e32 v37, 0xffff0000, v37
	;; [unrolled: 2-line block ×4, first 2 shown]
	v_cvt_pk_f16_f32 v44, v40, v36
	v_cvt_pk_f16_f32 v45, v41, v37
	;; [unrolled: 1-line block ×4, first 2 shown]
	scratch_load_dwordx4 v[36:39], off, off offset:16
	scratch_load_dwordx4 v[40:43], off, off offset:80
	s_waitcnt vmcnt(1)
	v_pk_fma_f16 v36, v44, v34, v36
	v_pk_fma_f16 v37, v45, v34, v37
	;; [unrolled: 1-line block ×4, first 2 shown]
	scratch_store_dwordx4 off, v[36:39], off offset:16
	global_load_dwordx4 v[36:39], v[32:33], off offset:256
	s_waitcnt vmcnt(2)
	v_pk_fma_f16 v40, v44, v35, v40
	v_pk_fma_f16 v41, v45, v35, v41
	;; [unrolled: 1-line block ×4, first 2 shown]
	scratch_store_dwordx4 off, v[40:43], off offset:80
	s_waitcnt vmcnt(1)
	s_nop 0
	v_lshlrev_b32_e32 v40, 16, v36
	v_and_b32_e32 v36, 0xffff0000, v36
	v_lshlrev_b32_e32 v41, 16, v37
	v_and_b32_e32 v37, 0xffff0000, v37
	;; [unrolled: 2-line block ×4, first 2 shown]
	v_cvt_pk_f16_f32 v44, v40, v36
	v_cvt_pk_f16_f32 v45, v41, v37
	;; [unrolled: 1-line block ×4, first 2 shown]
	scratch_load_dwordx4 v[36:39], off, off offset:32
	scratch_load_dwordx4 v[40:43], off, off offset:96
	s_waitcnt vmcnt(1)
	v_pk_fma_f16 v36, v44, v34, v36
	v_pk_fma_f16 v37, v45, v34, v37
	;; [unrolled: 1-line block ×4, first 2 shown]
	scratch_store_dwordx4 off, v[36:39], off offset:32
	global_load_dwordx4 v[36:39], v[32:33], off offset:384
	s_waitcnt vmcnt(2)
	v_pk_fma_f16 v40, v44, v35, v40
	v_pk_fma_f16 v41, v45, v35, v41
	v_pk_fma_f16 v42, v46, v35, v42
	v_pk_fma_f16 v43, v47, v35, v43
	scratch_store_dwordx4 off, v[40:43], off offset:96
	s_waitcnt vmcnt(1)
	v_lshlrev_b32_e32 v32, 16, v36
	v_and_b32_e32 v33, 0xffff0000, v36
	v_lshlrev_b32_e32 v36, 16, v37
	v_and_b32_e32 v37, 0xffff0000, v37
	;; [unrolled: 2-line block ×4, first 2 shown]
	v_cvt_pk_f16_f32 v32, v32, v33
	v_cvt_pk_f16_f32 v33, v36, v37
	;; [unrolled: 1-line block ×4, first 2 shown]
	scratch_load_dwordx4 v[36:39], off, off offset:48
	scratch_load_dwordx4 v[40:43], off, off offset:112
	s_waitcnt vmcnt(1)
	v_pk_fma_f16 v36, v32, v34, v36
	s_waitcnt vmcnt(0)
	v_pk_fma_f16 v40, v32, v35, v40
	ds_read_u16 v32, v135 offset:48
	v_pk_fma_f16 v37, v33, v34, v37
	v_pk_fma_f16 v38, v44, v34, v38
	v_pk_fma_f16 v39, v45, v34, v39
	v_pk_fma_f16 v41, v33, v35, v41
	s_waitcnt lgkmcnt(0)
	v_mul_u32_u24_e32 v34, 0x10001, v32
	ds_read_u16 v32, v135 offset:304
	v_pk_fma_f16 v42, v44, v35, v42
	v_pk_fma_f16 v43, v45, v35, v43
	scratch_store_dwordx4 off, v[36:39], off offset:48
	scratch_store_dwordx4 off, v[40:43], off offset:112
	s_waitcnt lgkmcnt(0)
	v_mul_u32_u24_e32 v35, 0x10001, v32
	v_lshl_add_u64 v[32:33], s[28:29], 0, v[110:111]
	v_lshl_add_u64 v[32:33], v[32:33], 0, v[86:87]
	global_load_dwordx4 v[36:39], v[32:33], off
	s_waitcnt vmcnt(0)
	v_lshlrev_b32_e32 v40, 16, v36
	v_and_b32_e32 v36, 0xffff0000, v36
	v_lshlrev_b32_e32 v41, 16, v37
	v_and_b32_e32 v37, 0xffff0000, v37
	;; [unrolled: 2-line block ×4, first 2 shown]
	v_cvt_pk_f16_f32 v44, v40, v36
	v_cvt_pk_f16_f32 v45, v41, v37
	;; [unrolled: 1-line block ×4, first 2 shown]
	scratch_load_dwordx4 v[36:39], off, off
	scratch_load_dwordx4 v[40:43], off, off offset:64
	s_waitcnt vmcnt(1)
	v_pk_fma_f16 v36, v44, v34, v36
	v_pk_fma_f16 v37, v45, v34, v37
	v_pk_fma_f16 v38, v46, v34, v38
	v_pk_fma_f16 v39, v47, v34, v39
	scratch_store_dwordx4 off, v[36:39], off
	global_load_dwordx4 v[36:39], v[32:33], off offset:128
	s_waitcnt vmcnt(2)
	v_pk_fma_f16 v40, v44, v35, v40
	v_pk_fma_f16 v41, v45, v35, v41
	;; [unrolled: 1-line block ×4, first 2 shown]
	scratch_store_dwordx4 off, v[40:43], off offset:64
	s_waitcnt vmcnt(1)
	s_nop 0
	v_lshlrev_b32_e32 v40, 16, v36
	v_and_b32_e32 v36, 0xffff0000, v36
	v_lshlrev_b32_e32 v41, 16, v37
	v_and_b32_e32 v37, 0xffff0000, v37
	;; [unrolled: 2-line block ×4, first 2 shown]
	v_cvt_pk_f16_f32 v44, v40, v36
	v_cvt_pk_f16_f32 v45, v41, v37
	;; [unrolled: 1-line block ×4, first 2 shown]
	scratch_load_dwordx4 v[36:39], off, off offset:16
	scratch_load_dwordx4 v[40:43], off, off offset:80
	s_waitcnt vmcnt(1)
	v_pk_fma_f16 v36, v44, v34, v36
	v_pk_fma_f16 v37, v45, v34, v37
	;; [unrolled: 1-line block ×4, first 2 shown]
	scratch_store_dwordx4 off, v[36:39], off offset:16
	global_load_dwordx4 v[36:39], v[32:33], off offset:256
	s_waitcnt vmcnt(2)
	v_pk_fma_f16 v40, v44, v35, v40
	v_pk_fma_f16 v41, v45, v35, v41
	;; [unrolled: 1-line block ×4, first 2 shown]
	scratch_store_dwordx4 off, v[40:43], off offset:80
	s_waitcnt vmcnt(1)
	s_nop 0
	v_lshlrev_b32_e32 v40, 16, v36
	v_and_b32_e32 v36, 0xffff0000, v36
	v_lshlrev_b32_e32 v41, 16, v37
	v_and_b32_e32 v37, 0xffff0000, v37
	v_lshlrev_b32_e32 v42, 16, v38
	v_and_b32_e32 v38, 0xffff0000, v38
	v_lshlrev_b32_e32 v43, 16, v39
	v_and_b32_e32 v39, 0xffff0000, v39
	v_cvt_pk_f16_f32 v44, v40, v36
	v_cvt_pk_f16_f32 v45, v41, v37
	;; [unrolled: 1-line block ×4, first 2 shown]
	scratch_load_dwordx4 v[36:39], off, off offset:32
	scratch_load_dwordx4 v[40:43], off, off offset:96
	s_waitcnt vmcnt(1)
	v_pk_fma_f16 v36, v44, v34, v36
	v_pk_fma_f16 v37, v45, v34, v37
	;; [unrolled: 1-line block ×4, first 2 shown]
	scratch_store_dwordx4 off, v[36:39], off offset:32
	global_load_dwordx4 v[36:39], v[32:33], off offset:384
	s_waitcnt vmcnt(2)
	v_pk_fma_f16 v40, v44, v35, v40
	v_pk_fma_f16 v41, v45, v35, v41
	v_pk_fma_f16 v42, v46, v35, v42
	v_pk_fma_f16 v43, v47, v35, v43
	scratch_store_dwordx4 off, v[40:43], off offset:96
	s_waitcnt vmcnt(1)
	v_lshlrev_b32_e32 v32, 16, v36
	v_and_b32_e32 v33, 0xffff0000, v36
	v_lshlrev_b32_e32 v36, 16, v37
	v_and_b32_e32 v37, 0xffff0000, v37
	;; [unrolled: 2-line block ×4, first 2 shown]
	v_cvt_pk_f16_f32 v32, v32, v33
	v_cvt_pk_f16_f32 v33, v36, v37
	v_cvt_pk_f16_f32 v44, v40, v38
	v_cvt_pk_f16_f32 v45, v41, v39
	scratch_load_dwordx4 v[36:39], off, off offset:48
	scratch_load_dwordx4 v[40:43], off, off offset:112
	s_waitcnt vmcnt(1)
	v_pk_fma_f16 v36, v32, v34, v36
	s_waitcnt vmcnt(0)
	v_pk_fma_f16 v40, v32, v35, v40
	ds_read_u16 v32, v135 offset:56
	v_pk_fma_f16 v37, v33, v34, v37
	v_pk_fma_f16 v38, v44, v34, v38
	;; [unrolled: 1-line block ×4, first 2 shown]
	s_waitcnt lgkmcnt(0)
	v_mul_u32_u24_e32 v34, 0x10001, v32
	ds_read_u16 v32, v135 offset:312
	v_pk_fma_f16 v42, v44, v35, v42
	v_pk_fma_f16 v43, v45, v35, v43
	scratch_store_dwordx4 off, v[36:39], off offset:48
	scratch_store_dwordx4 off, v[40:43], off offset:112
	s_waitcnt lgkmcnt(0)
	v_mul_u32_u24_e32 v35, 0x10001, v32
	v_lshl_add_u64 v[32:33], s[28:29], 0, v[112:113]
	v_lshl_add_u64 v[32:33], v[32:33], 0, v[86:87]
	global_load_dwordx4 v[36:39], v[32:33], off
	s_add_u32 s28, s28, s23
	s_addc_u32 s29, s29, 0
	s_lshl_b64 s[12:13], s[24:25], 1
	s_add_u32 s26, s26, s12
	s_addc_u32 s27, s27, s13
	s_cmp_ge_i32 s22, s21
	s_waitcnt vmcnt(0)
	v_lshlrev_b32_e32 v40, 16, v36
	v_and_b32_e32 v36, 0xffff0000, v36
	v_lshlrev_b32_e32 v41, 16, v37
	v_and_b32_e32 v37, 0xffff0000, v37
	;; [unrolled: 2-line block ×4, first 2 shown]
	v_cvt_pk_f16_f32 v44, v40, v36
	v_cvt_pk_f16_f32 v45, v41, v37
	;; [unrolled: 1-line block ×4, first 2 shown]
	scratch_load_dwordx4 v[36:39], off, off
	scratch_load_dwordx4 v[40:43], off, off offset:64
	s_waitcnt vmcnt(1)
	v_pk_fma_f16 v36, v44, v34, v36
	v_pk_fma_f16 v37, v45, v34, v37
	;; [unrolled: 1-line block ×4, first 2 shown]
	scratch_store_dwordx4 off, v[36:39], off
	global_load_dwordx4 v[36:39], v[32:33], off offset:128
	s_waitcnt vmcnt(2)
	v_pk_fma_f16 v40, v44, v35, v40
	v_pk_fma_f16 v41, v45, v35, v41
	;; [unrolled: 1-line block ×4, first 2 shown]
	scratch_store_dwordx4 off, v[40:43], off offset:64
	s_waitcnt vmcnt(1)
	s_nop 0
	v_lshlrev_b32_e32 v40, 16, v36
	v_and_b32_e32 v36, 0xffff0000, v36
	v_lshlrev_b32_e32 v41, 16, v37
	v_and_b32_e32 v37, 0xffff0000, v37
	;; [unrolled: 2-line block ×4, first 2 shown]
	v_cvt_pk_f16_f32 v44, v40, v36
	v_cvt_pk_f16_f32 v45, v41, v37
	;; [unrolled: 1-line block ×4, first 2 shown]
	scratch_load_dwordx4 v[36:39], off, off offset:16
	scratch_load_dwordx4 v[40:43], off, off offset:80
	s_waitcnt vmcnt(1)
	v_pk_fma_f16 v36, v44, v34, v36
	v_pk_fma_f16 v37, v45, v34, v37
	;; [unrolled: 1-line block ×4, first 2 shown]
	scratch_store_dwordx4 off, v[36:39], off offset:16
	global_load_dwordx4 v[36:39], v[32:33], off offset:256
	s_waitcnt vmcnt(2)
	v_pk_fma_f16 v40, v44, v35, v40
	v_pk_fma_f16 v41, v45, v35, v41
	;; [unrolled: 1-line block ×4, first 2 shown]
	scratch_store_dwordx4 off, v[40:43], off offset:80
	s_waitcnt vmcnt(1)
	v_lshlrev_b32_e32 v44, 16, v39
	v_lshlrev_b32_e32 v40, 16, v36
	v_and_b32_e32 v36, 0xffff0000, v36
	v_lshlrev_b32_e32 v41, 16, v37
	v_and_b32_e32 v37, 0xffff0000, v37
	;; [unrolled: 2-line block ×3, first 2 shown]
	v_and_b32_e32 v45, 0xffff0000, v39
	v_cvt_pk_f16_f32 v39, v40, v36
	v_cvt_pk_f16_f32 v38, v41, v37
	;; [unrolled: 1-line block ×4, first 2 shown]
	scratch_load_dwordx4 v[40:43], off, off offset:32
	scratch_load_dwordx4 v[44:47], off, off offset:96
	s_waitcnt vmcnt(1)
	v_pk_fma_f16 v40, v39, v34, v40
	s_waitcnt vmcnt(0)
	v_pk_fma_f16 v44, v39, v35, v44
	v_pk_fma_f16 v41, v38, v34, v41
	;; [unrolled: 1-line block ×7, first 2 shown]
	global_load_dwordx4 v[36:39], v[32:33], off offset:384
	s_waitcnt vmcnt(0)
	v_lshlrev_b32_e32 v32, 16, v36
	scratch_store_dwordx4 off, v[40:43], off offset:32
	v_and_b32_e32 v33, 0xffff0000, v36
	v_lshlrev_b32_e32 v36, 16, v37
	v_and_b32_e32 v37, 0xffff0000, v37
	v_lshlrev_b32_e32 v40, 16, v38
	;; [unrolled: 2-line block ×3, first 2 shown]
	v_and_b32_e32 v39, 0xffff0000, v39
	scratch_store_dwordx4 off, v[44:47], off offset:96
	v_cvt_pk_f16_f32 v32, v32, v33
	v_cvt_pk_f16_f32 v33, v36, v37
	;; [unrolled: 1-line block ×4, first 2 shown]
	scratch_load_dwordx4 v[36:39], off, off offset:48
	scratch_load_dwordx4 v[40:43], off, off offset:112
	s_waitcnt vmcnt(1)
	v_pk_fma_f16 v36, v32, v34, v36
	s_waitcnt vmcnt(0)
	v_pk_fma_f16 v40, v32, v35, v40
	v_pk_fma_f16 v37, v33, v34, v37
	;; [unrolled: 1-line block ×7, first 2 shown]
	scratch_store_dwordx4 off, v[36:39], off offset:48
	scratch_store_dwordx4 off, v[40:43], off offset:112
	s_cbranch_scc1 .LBB28_40
; %bb.38:                               ;   in Loop: Header=BB28_21 Depth=1
	v_mov_b32_e32 v34, v118
	v_mov_b32_e32 v37, v119
	s_branch .LBB28_21
.LBB28_39:
	v_mov_b32_e32 v118, 0xfeffffff
	v_mov_b32_e32 v48, 0
	;; [unrolled: 1-line block ×4, first 2 shown]
.LBB28_40:
	s_cmp_eq_u64 s[44:45], 0
	s_cselect_b64 s[4:5], -1, 0
	s_cmp_lg_u32 s3, 0
	s_cselect_b64 s[6:7], -1, 0
	s_or_b64 s[4:5], s[6:7], s[4:5]
	s_nor_b64 s[4:5], s[4:5], s[16:17]
	s_and_saveexec_b64 s[8:9], s[4:5]
	s_cbranch_execz .LBB28_42
; %bb.41:
	v_lshlrev_b32_e32 v16, 6, v125
	scratch_load_dwordx4 v[0:3], v16, off
	scratch_load_dwordx4 v[4:7], v16, off offset:16
	scratch_load_dwordx4 v[8:11], v16, off offset:32
	;; [unrolled: 1-line block ×3, first 2 shown]
	s_ashr_i32 s21, s20, 31
	s_lshl_b64 s[4:5], s[20:21], 2
	s_add_u32 s4, s44, s4
	s_addc_u32 s5, s45, s5
	s_load_dword s4, s[4:5], 0x0
	v_cmp_eq_u32_e32 vcc, 1, v125
	s_mov_b32 s2, 0x3fb8aa3b
	s_mov_b32 s10, 0xc2ce8ed0
	v_cndmask_b32_e32 v17, v118, v119, vcc
	v_max_f32_e32 v19, v17, v17
	s_waitcnt lgkmcnt(0)
	v_max_f32_e64 v21, s4, s4
	v_max_f32_e32 v19, v21, v19
	v_sub_f32_e32 v17, v17, v19
	v_sub_f32_e32 v21, s4, v19
	v_mul_f32_e32 v22, 0x3fb8aa3b, v17
	v_mul_f32_e32 v23, 0x3fb8aa3b, v21
	v_fma_f32 v24, v17, s2, -v22
	v_rndne_f32_e32 v25, v22
	v_fma_f32 v26, v21, s2, -v23
	v_rndne_f32_e32 v27, v23
	v_fmac_f32_e32 v24, 0x32a5705f, v17
	v_sub_f32_e32 v22, v22, v25
	v_fmac_f32_e32 v26, 0x32a5705f, v21
	v_sub_f32_e32 v23, v23, v27
	v_add_f32_e32 v22, v22, v24
	v_cvt_i32_f32_e32 v25, v25
	v_add_f32_e32 v23, v23, v26
	v_exp_f32_e32 v22, v22
	v_cvt_i32_f32_e32 v27, v27
	v_exp_f32_e32 v23, v23
	v_cmp_eq_u32_e64 s[4:5], 0, v125
	v_cndmask_b32_e32 v119, v119, v19, vcc
	v_cmp_ngt_f32_e64 s[6:7], s10, v17
	v_cndmask_b32_e64 v118, v118, v19, s[4:5]
	v_ldexp_f32 v19, v22, v25
	s_mov_b32 s11, 0x42b17218
	v_ldexp_f32 v22, v23, v27
	v_cndmask_b32_e64 v19, 0, v19, s[6:7]
	v_cmp_ngt_f32_e64 s[6:7], s10, v21
	v_mov_b32_e32 v18, 0x7f800000
	v_cndmask_b32_e32 v20, v48, v49, vcc
	v_cndmask_b32_e64 v22, 0, v22, s[6:7]
	v_cmp_nlt_f32_e64 s[6:7], s11, v17
	s_nop 1
	v_cndmask_b32_e64 v17, v18, v19, s[6:7]
	v_cvt_f16_f32_e32 v19, v17
	v_cmp_nlt_f32_e64 s[6:7], s11, v21
	s_nop 1
	v_cndmask_b32_e64 v18, v18, v22, s[6:7]
	v_cmp_eq_u32_e64 s[6:7], 0, v122
	s_nop 1
	v_cndmask_b32_e64 v18, 0, v18, s[6:7]
	v_fmac_f32_e32 v18, v20, v17
	v_mul_u32_u24_e32 v17, 0x10001, v19
	v_cndmask_b32_e32 v49, v49, v18, vcc
	v_cndmask_b32_e64 v48, v48, v18, s[4:5]
	s_waitcnt vmcnt(3)
	v_pk_mul_f16 v0, v0, v17
	v_pk_mul_f16 v1, v1, v17
	v_pk_mul_f16 v2, v2, v17
	v_pk_mul_f16 v3, v3, v17
	s_waitcnt vmcnt(2)
	v_pk_mul_f16 v4, v4, v17
	v_pk_mul_f16 v5, v5, v17
	v_pk_mul_f16 v6, v6, v17
	v_pk_mul_f16 v7, v7, v17
	;; [unrolled: 5-line block ×4, first 2 shown]
	scratch_store_dwordx4 v16, v[0:3], off
	scratch_store_dwordx4 v16, v[4:7], off offset:16
	scratch_store_dwordx4 v16, v[8:11], off offset:32
	;; [unrolled: 1-line block ×3, first 2 shown]
.LBB28_42:
	s_or_b64 exec, exec, s[8:9]
	v_cmp_eq_u32_e32 vcc, 0, v125
	v_add_u32_e32 v2, 0x2100, v126
	v_or_b32_e32 v8, 0x2000, v126
	s_and_saveexec_b64 s[4:5], vcc
	s_cbranch_execz .LBB28_44
; %bb.43:
	v_mov_b32_e32 v0, 0xfeffffff
	v_mov_b32_e32 v1, 0
	ds_write2_b32 v8, v0, v0 offset1:32
	ds_write2_b32 v2, v1, v1 offset1:32
.LBB28_44:
	s_or_b64 exec, exec, s[4:5]
	v_cmp_eq_u32_e64 s[4:5], 0, v122
	s_waitcnt lgkmcnt(0)
	s_barrier
	s_and_saveexec_b64 s[6:7], s[4:5]
; %bb.45:
	v_lshlrev_b32_e32 v0, 2, v125
	v_add_u32_e32 v0, 0x2000, v0
	ds_write2_b32 v0, v118, v119 offset1:32
; %bb.46:
	s_or_b64 exec, exec, s[6:7]
	s_cmp_lt_i32 s33, s18
	s_waitcnt lgkmcnt(0)
	s_barrier
	s_cbranch_scc1 .LBB28_48
; %bb.47:
	s_add_u32 s6, s0, 0xd0
	s_addc_u32 s7, s1, 0
	s_mul_i32 s2, s54, s18
	s_cbranch_execz .LBB28_49
	s_branch .LBB28_56
.LBB28_48:
                                        ; implicit-def: $sgpr6_sgpr7
	s_mul_i32 s2, s54, s18
.LBB28_49:
	v_mbcnt_hi_u32_b32 v1, -1, v128
	ds_read_b32 v5, v8
	v_and_b32_e32 v3, 0x60, v1
	scratch_load_dwordx4 v[12:15], off, off
	scratch_load_dwordx4 v[16:19], off, off offset:16
	scratch_load_dwordx4 v[20:23], off, off offset:32
	;; [unrolled: 1-line block ×3, first 2 shown]
	v_xor_b32_e32 v4, 16, v1
	v_add_u32_e32 v7, 32, v3
	v_cmp_lt_i32_e32 vcc, v4, v7
	v_xor_b32_e32 v6, 8, v1
	v_xor_b32_e32 v29, 1, v1
	v_cndmask_b32_e32 v3, v1, v4, vcc
	v_lshlrev_b32_e32 v3, 2, v3
	s_waitcnt lgkmcnt(0)
	ds_bpermute_b32 v9, v3, v5
	v_cmp_lt_i32_e32 vcc, v6, v7
	v_max_f32_e32 v5, v5, v5
	v_mov_b32_e32 v0, 0x2100
	v_cndmask_b32_e32 v4, v1, v6, vcc
	s_waitcnt lgkmcnt(0)
	v_max_f32_e32 v6, v9, v9
	v_lshlrev_b32_e32 v4, 2, v4
	v_max_f32_e32 v6, v5, v6
	ds_bpermute_b32 v9, v4, v6
	v_xor_b32_e32 v5, 4, v1
	v_cmp_lt_i32_e32 vcc, v5, v7
	s_add_u32 s6, s0, 0xd0
	s_load_dword s10, s[0:1], 0xd4
	v_cndmask_b32_e32 v5, v1, v5, vcc
	s_waitcnt lgkmcnt(0)
	v_max_f32_e32 v9, v9, v9
	v_lshlrev_b32_e32 v5, 2, v5
	v_max_f32_e32 v9, v6, v9
	ds_bpermute_b32 v28, v5, v9
	v_xor_b32_e32 v6, 2, v1
	v_cmp_lt_i32_e32 vcc, v6, v7
	s_mov_b32 s0, 0x3fb8aa3b
	s_mov_b32 s9, 0xc2ce8ed0
	v_cndmask_b32_e32 v6, v1, v6, vcc
	s_waitcnt lgkmcnt(0)
	v_max_f32_e32 v28, v28, v28
	v_lshlrev_b32_e32 v6, 2, v6
	v_max_f32_e32 v9, v9, v28
	ds_bpermute_b32 v28, v6, v9
	v_cmp_lt_i32_e32 vcc, v29, v7
	v_lshlrev_b32_e32 v11, 6, v122
	s_mov_b32 s11, 0x42b17218
	v_cndmask_b32_e32 v1, v1, v29, vcc
	v_lshlrev_b32_e32 v7, 2, v1
	s_waitcnt lgkmcnt(0)
	v_max_f32_e32 v1, v28, v28
	v_max_f32_e32 v1, v9, v1
	ds_bpermute_b32 v28, v7, v1
	v_lshl_add_u32 v9, v125, 2, v0
	v_mov_b32_e32 v29, 0x7f800000
	v_and_b32_e32 v11, 0x1e00, v11
	v_lshlrev_b32_e32 v10, 4, v122
	s_waitcnt lgkmcnt(0)
	v_max_f32_e32 v0, v28, v28
	v_max_f32_e32 v0, v1, v0
	v_sub_f32_e32 v1, v118, v0
	v_mul_f32_e32 v28, 0x3fb8aa3b, v1
	v_fma_f32 v30, v1, s0, -v28
	v_rndne_f32_e32 v31, v28
	v_fmamk_f32 v30, v1, 0x32a5705f, v30
	v_sub_f32_e32 v28, v28, v31
	v_add_f32_e32 v28, v28, v30
	v_cvt_i32_f32_e32 v31, v31
	v_exp_f32_e32 v28, v28
	v_cmp_ngt_f32_e32 vcc, s9, v1
	s_movk_i32 s8, 0x70
	v_lshl_add_u32 v11, v125, 11, v11
	v_ldexp_f32 v28, v28, v31
	v_cndmask_b32_e32 v28, 0, v28, vcc
	v_cmp_nlt_f32_e32 vcc, s11, v1
	v_and_or_b32 v10, v10, s8, v11
	s_addc_u32 s7, s1, 0
	v_cndmask_b32_e32 v1, v29, v28, vcc
	v_mul_f32_e32 v11, v48, v1
	ds_bpermute_b32 v11, v3, v11
	v_cvt_f16_f32_e32 v28, v1
	s_waitcnt lgkmcnt(0)
	v_fmac_f32_e32 v11, v48, v1
	ds_bpermute_b32 v1, v4, v11
	v_mul_u32_u24_e32 v28, 0x10001, v28
	s_waitcnt vmcnt(3)
	v_pk_mul_f16 v12, v12, v28
	v_pk_mul_f16 v13, v13, v28
	s_waitcnt lgkmcnt(0)
	v_add_f32_e32 v1, v11, v1
	ds_bpermute_b32 v11, v5, v1
	v_pk_mul_f16 v14, v14, v28
	v_pk_mul_f16 v15, v15, v28
	s_waitcnt vmcnt(2)
	v_pk_mul_f16 v16, v16, v28
	v_pk_mul_f16 v17, v17, v28
	s_waitcnt lgkmcnt(0)
	v_add_f32_e32 v1, v1, v11
	ds_bpermute_b32 v11, v6, v1
	v_pk_mul_f16 v18, v18, v28
	v_pk_mul_f16 v19, v19, v28
	;; [unrolled: 8-line block ×3, first 2 shown]
	s_waitcnt vmcnt(0)
	v_pk_mul_f16 v24, v24, v28
	v_pk_mul_f16 v25, v25, v28
	;; [unrolled: 1-line block ×4, first 2 shown]
	scratch_store_dwordx4 off, v[12:15], off
	scratch_store_dwordx4 off, v[16:19], off offset:16
	scratch_store_dwordx4 off, v[20:23], off offset:32
	;; [unrolled: 1-line block ×3, first 2 shown]
	ds_write_b128 v10, v[12:15]
	ds_write_b128 v10, v[16:19] offset:128
	ds_write_b128 v10, v[20:23] offset:256
	;; [unrolled: 1-line block ×3, first 2 shown]
	s_and_saveexec_b64 s[0:1], s[4:5]
	s_cbranch_execz .LBB28_51
; %bb.50:
	s_waitcnt lgkmcnt(4)
	v_add_f32_e32 v1, v1, v11
	ds_write_b32 v9, v1
.LBB28_51:
	s_or_b64 exec, exec, s[0:1]
	s_waitcnt lgkmcnt(0)
	s_barrier
	ds_read_b32 v1, v2
	ds_read_u16 v11, v124
	ds_read_u16 v13, v124 offset:1280
	ds_read_u16 v14, v124 offset:768
	;; [unrolled: 1-line block ×3, first 2 shown]
	s_waitcnt lgkmcnt(4)
	ds_bpermute_b32 v12, v3, v1
	ds_read_u16 v16, v124 offset:512
	ds_read_u16 v17, v124 offset:1024
	;; [unrolled: 1-line block ×3, first 2 shown]
	s_waitcnt lgkmcnt(7)
	v_cvt_f32_f16_e32 v11, v11
	s_waitcnt lgkmcnt(5)
	v_cvt_f32_f16_e32 v14, v14
	;; [unrolled: 2-line block ×3, first 2 shown]
	v_add_f32_e32 v1, v1, v12
	ds_bpermute_b32 v12, v4, v1
	s_waitcnt lgkmcnt(2)
	v_cvt_f32_f16_e32 v17, v17
	s_waitcnt lgkmcnt(1)
	v_cvt_f32_f16_e32 v18, v18
	v_add_f32_e32 v11, 0, v11
	v_add_f32_e32 v11, v11, v16
	s_waitcnt lgkmcnt(0)
	v_add_f32_e32 v1, v1, v12
	ds_bpermute_b32 v12, v5, v1
	v_add_f32_e32 v11, v11, v17
	v_add_f32_e32 v11, v11, v18
	v_cvt_f32_f16_e32 v15, v15
	v_cvt_f32_f16_e32 v13, v13
	s_waitcnt lgkmcnt(0)
	v_add_f32_e32 v1, v1, v12
	ds_bpermute_b32 v12, v6, v1
	s_cmp_eq_u32 s10, 1
	v_add_f32_e32 v15, 0, v15
	v_add_f32_e32 v14, v15, v14
	;; [unrolled: 1-line block ×3, first 2 shown]
	s_waitcnt lgkmcnt(0)
	v_add_f32_e32 v1, v1, v12
	ds_bpermute_b32 v12, v7, v1
	s_waitcnt lgkmcnt(0)
	v_add_f32_e32 v48, v1, v12
	ds_read_u16 v1, v124 offset:2048
	ds_read_u16 v12, v124 offset:2560
	ds_read_u16 v16, v124 offset:3072
	ds_read_u16 v17, v124 offset:3584
	ds_read_u16 v18, v124 offset:3328
	ds_read_u16 v19, v124 offset:2816
	ds_read_u16 v20, v124 offset:2304
	ds_read_u16 v21, v124 offset:1792
	s_waitcnt lgkmcnt(7)
	v_cvt_f32_f16_e32 v1, v1
	s_waitcnt lgkmcnt(6)
	v_cvt_f32_f16_e32 v12, v12
	s_waitcnt lgkmcnt(5)
	v_cvt_f32_f16_e32 v16, v16
	s_waitcnt lgkmcnt(4)
	v_cvt_f32_f16_e32 v17, v17
	v_add_f32_e32 v1, v11, v1
	v_add_f32_e32 v1, v1, v12
	v_add_f32_e32 v1, v1, v16
	v_add_f32_e32 v1, v1, v17
	ds_read_u16 v11, v124 offset:4096
	ds_read_u16 v12, v124 offset:4608
	ds_read_u16 v16, v124 offset:5120
	ds_read_u16 v17, v124 offset:5632
	ds_read_u16 v22, v124 offset:5376
	ds_read_u16 v23, v124 offset:4864
	ds_read_u16 v24, v124 offset:4352
	ds_read_u16 v25, v124 offset:3840
	s_waitcnt lgkmcnt(7)
	v_cvt_f32_f16_e32 v11, v11
	s_waitcnt lgkmcnt(6)
	v_cvt_f32_f16_e32 v12, v12
	s_waitcnt lgkmcnt(5)
	v_cvt_f32_f16_e32 v16, v16
	s_waitcnt lgkmcnt(4)
	v_cvt_f32_f16_e32 v17, v17
	v_add_f32_e32 v1, v1, v11
	v_add_f32_e32 v1, v1, v12
	v_add_f32_e32 v1, v1, v16
	v_add_f32_e32 v1, v1, v17
	ds_read_u16 v11, v124 offset:6144
	ds_read_u16 v12, v124 offset:6656
	ds_read_u16 v16, v124 offset:7168
	ds_read_u16 v17, v124 offset:7680
	ds_read_u16 v26, v124 offset:7424
	ds_read_u16 v27, v124 offset:6912
	ds_read_u16 v28, v124 offset:6400
	ds_read_u16 v29, v124 offset:5888
	s_waitcnt lgkmcnt(7)
	v_cvt_f32_f16_e32 v11, v11
	s_waitcnt lgkmcnt(6)
	v_cvt_f32_f16_e32 v12, v12
	s_waitcnt lgkmcnt(5)
	v_cvt_f32_f16_e32 v16, v16
	s_waitcnt lgkmcnt(4)
	v_cvt_f32_f16_e32 v17, v17
	v_add_f32_e32 v1, v1, v11
	v_add_f32_e32 v1, v1, v12
	v_add_f32_e32 v1, v1, v16
	v_add_f32_e32 v11, v1, v17
	v_div_scale_f32 v1, s[0:1], v48, v48, v11
	v_rcp_f32_e32 v12, v1
	s_cselect_b64 s[0:1], -1, 0
	v_cvt_f32_f16_e32 v14, v20
	v_cvt_f32_f16_e32 v15, v19
	v_fma_f32 v16, -v1, v12, 1.0
	v_fmac_f32_e32 v12, v16, v12
	v_div_scale_f32 v16, vcc, v11, v48, v11
	v_mul_f32_e32 v17, v16, v12
	v_fma_f32 v30, -v1, v17, v16
	v_fmac_f32_e32 v17, v30, v12
	v_fma_f32 v1, -v1, v17, v16
	v_div_fmas_f32 v1, v1, v12, v17
	v_div_fixup_f32 v16, v1, v48, v11
	v_cndmask_b32_e64 v11, v11, v16, s[0:1]
	v_cvt_f32_f16_e32 v16, v21
	s_waitcnt lgkmcnt(3)
	v_cvt_f32_f16_e32 v17, v26
	s_add_i32 s8, s2, s33
	s_mul_i32 s11, s8, s19
	v_add_f32_e32 v13, v13, v16
	v_cvt_f32_f16_e32 v16, v18
	v_add_f32_e32 v13, v13, v14
	v_cvt_f32_f16_e32 v14, v25
	;; [unrolled: 2-line block ×3, first 2 shown]
	v_add_f32_e32 v13, v13, v16
	v_add_f32_e32 v13, v13, v14
	v_cvt_f32_f16_e32 v14, v23
	v_cvt_f32_f16_e32 v16, v22
	v_add_f32_e32 v13, v13, v15
	s_waitcnt lgkmcnt(0)
	v_cvt_f32_f16_e32 v15, v29
	v_add_f32_e32 v13, v13, v14
	ds_read_u16 v14, v124 offset:7936
	v_add_f32_e32 v13, v13, v16
	v_add_f32_e32 v13, v13, v15
	v_cvt_f32_f16_e32 v15, v28
	v_cvt_f32_f16_e32 v16, v27
	s_waitcnt lgkmcnt(0)
	v_cvt_f32_f16_e32 v14, v14
	s_add_i32 s11, s11, s20
	v_add_f32_e32 v13, v13, v15
	v_add_f32_e32 v13, v13, v16
	s_mul_i32 s8, s10, s11
	v_add_f32_e32 v13, v13, v17
	s_add_i32 s8, s8, s3
	v_add_f32_e32 v14, v13, v14
	v_lshl_or_b32 v12, s8, 8, v123
	v_div_scale_f32 v15, s[8:9], v48, v48, v14
	v_rcp_f32_e32 v16, v15
	v_mov_b32_e32 v13, 0
	v_lshl_add_u64 v[12:13], v[12:13], 2, s[48:49]
	global_store_dword v[12:13], v11, off
	v_fma_f32 v11, -v15, v16, 1.0
	v_fmac_f32_e32 v16, v11, v16
	v_div_scale_f32 v11, vcc, v14, v48, v14
	v_mul_f32_e32 v17, v11, v16
	v_fma_f32 v18, -v15, v17, v11
	v_fmac_f32_e32 v17, v18, v16
	v_fma_f32 v11, -v15, v17, v11
	v_div_fmas_f32 v11, v11, v16, v17
	v_div_fixup_f32 v11, v11, v48, v14
	s_or_b32 s8, s33, 1
	v_mov_b32_e32 v1, v119
	v_cndmask_b32_e64 v11, v14, v11, s[0:1]
	s_cmp_ge_i32 s8, s18
	global_store_dword v[12:13], v11, off offset:512
	s_barrier
	s_cbranch_scc1 .LBB28_55
; %bb.52:
	ds_read_b32 v1, v8 offset:128
	scratch_load_dwordx4 v[12:15], off, off offset:64
	scratch_load_dwordx4 v[16:19], off, off offset:80
	;; [unrolled: 1-line block ×4, first 2 shown]
	s_mov_b32 s8, 0x3fb8aa3b
	s_waitcnt lgkmcnt(0)
	ds_bpermute_b32 v8, v3, v1
	v_max_f32_e32 v1, v1, v1
	s_mov_b32 s9, 0x42b17218
	v_or_b32_e32 v30, 0x100, v10
	v_or_b32_e32 v31, 0x180, v10
	s_waitcnt lgkmcnt(0)
	v_max_f32_e32 v8, v8, v8
	v_max_f32_e32 v1, v1, v8
	ds_bpermute_b32 v8, v4, v1
	s_waitcnt lgkmcnt(0)
	v_max_f32_e32 v8, v8, v8
	v_max_f32_e32 v1, v1, v8
	ds_bpermute_b32 v8, v5, v1
	;; [unrolled: 4-line block ×4, first 2 shown]
	s_waitcnt lgkmcnt(0)
	v_max_f32_e32 v8, v8, v8
	v_max_f32_e32 v1, v1, v8
	v_sub_f32_e32 v8, v119, v1
	v_mul_f32_e32 v11, 0x3fb8aa3b, v8
	v_fma_f32 v28, v8, s8, -v11
	v_rndne_f32_e32 v29, v11
	v_fmamk_f32 v28, v8, 0x32a5705f, v28
	v_sub_f32_e32 v11, v11, v29
	v_add_f32_e32 v11, v11, v28
	v_cvt_i32_f32_e32 v29, v29
	v_exp_f32_e32 v11, v11
	s_mov_b32 s8, 0xc2ce8ed0
	v_cmp_ngt_f32_e32 vcc, s8, v8
	v_mov_b32_e32 v28, 0x7f800000
	v_ldexp_f32 v11, v11, v29
	v_cndmask_b32_e32 v11, 0, v11, vcc
	v_cmp_nlt_f32_e32 vcc, s9, v8
	v_or_b32_e32 v29, 0x80, v10
	s_nop 0
	v_cndmask_b32_e32 v8, v28, v11, vcc
	v_mul_f32_e32 v11, v49, v8
	ds_bpermute_b32 v11, v3, v11
	s_waitcnt lgkmcnt(0)
	v_fmac_f32_e32 v11, v49, v8
	ds_bpermute_b32 v28, v4, v11
	v_cvt_f16_f32_e32 v8, v8
	s_waitcnt lgkmcnt(0)
	v_add_f32_e32 v11, v11, v28
	ds_bpermute_b32 v28, v5, v11
	v_mul_u32_u24_e32 v32, 0x10001, v8
	s_waitcnt lgkmcnt(0)
	v_add_f32_e32 v11, v11, v28
	ds_bpermute_b32 v28, v6, v11
	s_waitcnt vmcnt(2)
	v_pk_mul_f16 v16, v16, v32
	s_waitcnt lgkmcnt(0)
	v_add_f32_e32 v8, v11, v28
	ds_bpermute_b32 v11, v7, v8
	v_pk_mul_f16 v12, v12, v32
	v_pk_mul_f16 v13, v13, v32
	;; [unrolled: 1-line block ×7, first 2 shown]
	s_waitcnt vmcnt(1)
	v_pk_mul_f16 v20, v20, v32
	v_pk_mul_f16 v21, v21, v32
	;; [unrolled: 1-line block ×4, first 2 shown]
	s_waitcnt vmcnt(0)
	v_pk_mul_f16 v24, v24, v32
	v_pk_mul_f16 v25, v25, v32
	;; [unrolled: 1-line block ×4, first 2 shown]
	scratch_store_dwordx4 off, v[12:15], off offset:64
	scratch_store_dwordx4 off, v[16:19], off offset:80
	;; [unrolled: 1-line block ×4, first 2 shown]
	ds_write_b128 v10, v[12:15]
	ds_write_b128 v29, v[16:19]
	;; [unrolled: 1-line block ×4, first 2 shown]
	s_and_saveexec_b64 s[8:9], s[4:5]
	s_cbranch_execz .LBB28_54
; %bb.53:
	s_waitcnt lgkmcnt(4)
	v_add_f32_e32 v8, v8, v11
	ds_write_b32 v9, v8 offset:128
.LBB28_54:
	s_or_b64 exec, exec, s[8:9]
	s_waitcnt lgkmcnt(0)
	s_barrier
	ds_read_b32 v2, v2 offset:128
	ds_read_u16 v8, v124
	ds_read_u16 v9, v124 offset:1280
	ds_read_u16 v10, v124 offset:768
	;; [unrolled: 1-line block ×3, first 2 shown]
	s_waitcnt lgkmcnt(4)
	ds_bpermute_b32 v3, v3, v2
	s_add_i32 s11, s11, s19
	s_waitcnt lgkmcnt(0)
	v_add_f32_e32 v2, v2, v3
	ds_bpermute_b32 v3, v4, v2
	s_waitcnt lgkmcnt(0)
	v_add_f32_e32 v2, v2, v3
	ds_bpermute_b32 v3, v5, v2
	ds_read_u16 v4, v124 offset:512
	ds_read_u16 v5, v124 offset:1024
	;; [unrolled: 1-line block ×3, first 2 shown]
	s_waitcnt lgkmcnt(2)
	v_cvt_f32_f16_e32 v4, v4
	v_add_f32_e32 v2, v2, v3
	ds_bpermute_b32 v3, v6, v2
	v_cvt_f32_f16_e32 v6, v8
	s_waitcnt lgkmcnt(2)
	v_cvt_f32_f16_e32 v5, v5
	s_waitcnt lgkmcnt(1)
	v_cvt_f32_f16_e32 v8, v12
	s_waitcnt lgkmcnt(0)
	v_add_f32_e32 v2, v2, v3
	ds_bpermute_b32 v3, v7, v2
	v_add_f32_e32 v6, 0, v6
	v_add_f32_e32 v4, v6, v4
	;; [unrolled: 1-line block ×4, first 2 shown]
	s_waitcnt lgkmcnt(0)
	v_add_f32_e32 v49, v2, v3
	ds_read_u16 v2, v124 offset:2048
	ds_read_u16 v3, v124 offset:2560
	ds_read_u16 v5, v124 offset:3072
	ds_read_u16 v6, v124 offset:3584
	ds_read_u16 v7, v124 offset:3328
	ds_read_u16 v8, v124 offset:2816
	ds_read_u16 v12, v124 offset:2304
	ds_read_u16 v13, v124 offset:1792
	s_waitcnt lgkmcnt(7)
	v_cvt_f32_f16_e32 v2, v2
	s_waitcnt lgkmcnt(6)
	v_cvt_f32_f16_e32 v3, v3
	s_waitcnt lgkmcnt(5)
	v_cvt_f32_f16_e32 v5, v5
	s_waitcnt lgkmcnt(4)
	v_cvt_f32_f16_e32 v6, v6
	v_add_f32_e32 v2, v4, v2
	v_add_f32_e32 v2, v2, v3
	v_add_f32_e32 v2, v2, v5
	v_add_f32_e32 v2, v2, v6
	ds_read_u16 v3, v124 offset:4096
	ds_read_u16 v4, v124 offset:4608
	ds_read_u16 v5, v124 offset:5120
	ds_read_u16 v6, v124 offset:5632
	ds_read_u16 v14, v124 offset:5376
	ds_read_u16 v15, v124 offset:4864
	ds_read_u16 v16, v124 offset:4352
	ds_read_u16 v17, v124 offset:3840
	s_waitcnt lgkmcnt(7)
	v_cvt_f32_f16_e32 v3, v3
	s_waitcnt lgkmcnt(6)
	v_cvt_f32_f16_e32 v4, v4
	s_waitcnt lgkmcnt(5)
	v_cvt_f32_f16_e32 v5, v5
	s_waitcnt lgkmcnt(4)
	v_cvt_f32_f16_e32 v6, v6
	v_add_f32_e32 v2, v2, v3
	v_add_f32_e32 v2, v2, v4
	v_add_f32_e32 v2, v2, v5
	;; [unrolled: 20-line block ×3, first 2 shown]
	v_add_f32_e32 v3, v2, v6
	v_div_scale_f32 v4, s[4:5], v49, v49, v3
	v_rcp_f32_e32 v5, v4
	v_cvt_f32_f16_e32 v7, v7
	s_mul_i32 s4, s10, s11
	s_add_i32 s4, s4, s3
	v_fma_f32 v6, -v4, v5, 1.0
	v_fmac_f32_e32 v5, v6, v5
	v_div_scale_f32 v6, vcc, v3, v49, v3
	v_mul_f32_e32 v22, v6, v5
	v_fma_f32 v23, -v4, v22, v6
	v_fmac_f32_e32 v22, v23, v5
	v_fma_f32 v4, -v4, v22, v6
	v_div_fmas_f32 v4, v4, v5, v22
	v_div_fixup_f32 v4, v4, v49, v3
	v_cvt_f32_f16_e32 v5, v11
	v_cndmask_b32_e64 v4, v3, v4, s[0:1]
	v_cvt_f32_f16_e32 v3, v10
	v_cvt_f32_f16_e32 v6, v9
	v_add_f32_e32 v5, 0, v5
	v_cvt_f32_f16_e32 v9, v13
	v_add_f32_e32 v3, v5, v3
	v_cvt_f32_f16_e32 v5, v12
	v_add_f32_e32 v3, v3, v6
	v_cvt_f32_f16_e32 v6, v8
	v_add_f32_e32 v3, v3, v9
	v_add_f32_e32 v3, v3, v5
	v_cvt_f32_f16_e32 v5, v17
	v_add_f32_e32 v3, v3, v6
	v_cvt_f32_f16_e32 v6, v16
	v_add_f32_e32 v3, v3, v7
	v_add_f32_e32 v3, v3, v5
	v_cvt_f32_f16_e32 v5, v15
	v_cvt_f32_f16_e32 v7, v14
	v_add_f32_e32 v3, v3, v6
	s_waitcnt lgkmcnt(0)
	v_cvt_f32_f16_e32 v6, v21
	v_add_f32_e32 v3, v3, v5
	ds_read_u16 v5, v124 offset:7936
	v_add_f32_e32 v3, v3, v7
	v_add_f32_e32 v3, v3, v6
	v_cvt_f32_f16_e32 v6, v20
	v_cvt_f32_f16_e32 v7, v19
	;; [unrolled: 1-line block ×3, first 2 shown]
	s_waitcnt lgkmcnt(0)
	v_cvt_f32_f16_e32 v5, v5
	v_add_f32_e32 v3, v3, v6
	v_add_f32_e32 v3, v3, v7
	;; [unrolled: 1-line block ×4, first 2 shown]
	v_lshl_or_b32 v2, s4, 8, v123
	v_div_scale_f32 v6, s[4:5], v49, v49, v5
	v_rcp_f32_e32 v7, v6
	v_mov_b32_e32 v3, 0
	v_lshl_add_u64 v[2:3], v[2:3], 2, s[48:49]
	global_store_dword v[2:3], v4, off
	v_fma_f32 v4, -v6, v7, 1.0
	v_fmac_f32_e32 v7, v4, v7
	v_div_scale_f32 v4, vcc, v5, v49, v5
	v_mul_f32_e32 v8, v4, v7
	v_fma_f32 v9, -v6, v8, v4
	v_fmac_f32_e32 v8, v9, v7
	v_fma_f32 v4, -v6, v8, v4
	v_div_fmas_f32 v4, v4, v7, v8
	v_div_fixup_f32 v4, v4, v49, v5
	v_cndmask_b32_e64 v4, v5, v4, s[0:1]
	global_store_dword v[2:3], v4, off offset:512
.LBB28_55:
	v_mov_b64_e32 v[118:119], v[0:1]
.LBB28_56:
	s_load_dword s0, s[6:7], 0x4
	v_cmp_gt_u32_e32 vcc, 2, v123
	v_or_b32_e32 v0, s33, v122
	s_waitcnt lgkmcnt(0)
	s_cmp_lg_u32 s0, 1
	s_cselect_b64 s[4:5], -1, 0
	s_and_b64 s[4:5], s[4:5], vcc
	v_cmp_gt_i32_e32 vcc, s18, v0
	s_and_b64 s[4:5], s[4:5], vcc
	s_and_saveexec_b64 s[6:7], s[4:5]
	s_cbranch_execz .LBB28_58
; %bb.57:
	v_add_u32_e32 v0, s2, v0
	v_mul_lo_u32 v0, v0, s19
	v_add_u32_e32 v0, s20, v0
	v_mul_lo_u32 v0, s0, v0
	v_mov_b32_e32 v2, s50
	v_mov_b32_e32 v3, s51
	v_cmp_eq_u32_e32 vcc, 1, v123
	v_add_u32_e32 v0, s3, v0
	v_mov_b32_e32 v1, 0
	v_cndmask_b32_e32 v4, v118, v119, vcc
	v_cndmask_b32_e32 v5, v48, v49, vcc
	v_lshl_add_u64 v[0:1], v[0:1], 3, v[2:3]
	global_store_dwordx2 v[0:1], v[4:5], off
.LBB28_58:
	s_endpgm
	.section	.rodata,"a",@progbits
	.p2align	6, 0x0
	.amdhsa_kernel _ZL18flash_attn_ext_vecILi256ELi2EL9ggml_type3ELS0_30ELb0EEvPKcS2_S2_S2_S2_PKiPfP15HIP_vector_typeIfLj2EEffffjfiS6_IjLj3EEiiiiiiiiiiiliiliiiiil
		.amdhsa_group_segment_fixed_size 8704
		.amdhsa_private_segment_fixed_size 144
		.amdhsa_kernarg_size 464
		.amdhsa_user_sgpr_count 2
		.amdhsa_user_sgpr_dispatch_ptr 0
		.amdhsa_user_sgpr_queue_ptr 0
		.amdhsa_user_sgpr_kernarg_segment_ptr 1
		.amdhsa_user_sgpr_dispatch_id 0
		.amdhsa_user_sgpr_kernarg_preload_length 0
		.amdhsa_user_sgpr_kernarg_preload_offset 0
		.amdhsa_user_sgpr_private_segment_size 0
		.amdhsa_uses_dynamic_stack 0
		.amdhsa_enable_private_segment 1
		.amdhsa_system_sgpr_workgroup_id_x 1
		.amdhsa_system_sgpr_workgroup_id_y 1
		.amdhsa_system_sgpr_workgroup_id_z 1
		.amdhsa_system_sgpr_workgroup_info 0
		.amdhsa_system_vgpr_workitem_id 1
		.amdhsa_next_free_vgpr 166
		.amdhsa_next_free_sgpr 55
		.amdhsa_accum_offset 168
		.amdhsa_reserve_vcc 1
		.amdhsa_float_round_mode_32 0
		.amdhsa_float_round_mode_16_64 0
		.amdhsa_float_denorm_mode_32 3
		.amdhsa_float_denorm_mode_16_64 3
		.amdhsa_dx10_clamp 1
		.amdhsa_ieee_mode 1
		.amdhsa_fp16_overflow 0
		.amdhsa_tg_split 0
		.amdhsa_exception_fp_ieee_invalid_op 0
		.amdhsa_exception_fp_denorm_src 0
		.amdhsa_exception_fp_ieee_div_zero 0
		.amdhsa_exception_fp_ieee_overflow 0
		.amdhsa_exception_fp_ieee_underflow 0
		.amdhsa_exception_fp_ieee_inexact 0
		.amdhsa_exception_int_div_zero 0
	.end_amdhsa_kernel
	.section	.text._ZL18flash_attn_ext_vecILi256ELi2EL9ggml_type3ELS0_30ELb0EEvPKcS2_S2_S2_S2_PKiPfP15HIP_vector_typeIfLj2EEffffjfiS6_IjLj3EEiiiiiiiiiiiliiliiiiil,"axG",@progbits,_ZL18flash_attn_ext_vecILi256ELi2EL9ggml_type3ELS0_30ELb0EEvPKcS2_S2_S2_S2_PKiPfP15HIP_vector_typeIfLj2EEffffjfiS6_IjLj3EEiiiiiiiiiiiliiliiiiil,comdat
.Lfunc_end28:
	.size	_ZL18flash_attn_ext_vecILi256ELi2EL9ggml_type3ELS0_30ELb0EEvPKcS2_S2_S2_S2_PKiPfP15HIP_vector_typeIfLj2EEffffjfiS6_IjLj3EEiiiiiiiiiiiliiliiiiil, .Lfunc_end28-_ZL18flash_attn_ext_vecILi256ELi2EL9ggml_type3ELS0_30ELb0EEvPKcS2_S2_S2_S2_PKiPfP15HIP_vector_typeIfLj2EEffffjfiS6_IjLj3EEiiiiiiiiiiiliiliiiiil
                                        ; -- End function
	.set _ZL18flash_attn_ext_vecILi256ELi2EL9ggml_type3ELS0_30ELb0EEvPKcS2_S2_S2_S2_PKiPfP15HIP_vector_typeIfLj2EEffffjfiS6_IjLj3EEiiiiiiiiiiiliiliiiiil.num_vgpr, 166
	.set _ZL18flash_attn_ext_vecILi256ELi2EL9ggml_type3ELS0_30ELb0EEvPKcS2_S2_S2_S2_PKiPfP15HIP_vector_typeIfLj2EEffffjfiS6_IjLj3EEiiiiiiiiiiiliiliiiiil.num_agpr, 0
	.set _ZL18flash_attn_ext_vecILi256ELi2EL9ggml_type3ELS0_30ELb0EEvPKcS2_S2_S2_S2_PKiPfP15HIP_vector_typeIfLj2EEffffjfiS6_IjLj3EEiiiiiiiiiiiliiliiiiil.numbered_sgpr, 55
	.set _ZL18flash_attn_ext_vecILi256ELi2EL9ggml_type3ELS0_30ELb0EEvPKcS2_S2_S2_S2_PKiPfP15HIP_vector_typeIfLj2EEffffjfiS6_IjLj3EEiiiiiiiiiiiliiliiiiil.num_named_barrier, 0
	.set _ZL18flash_attn_ext_vecILi256ELi2EL9ggml_type3ELS0_30ELb0EEvPKcS2_S2_S2_S2_PKiPfP15HIP_vector_typeIfLj2EEffffjfiS6_IjLj3EEiiiiiiiiiiiliiliiiiil.private_seg_size, 144
	.set _ZL18flash_attn_ext_vecILi256ELi2EL9ggml_type3ELS0_30ELb0EEvPKcS2_S2_S2_S2_PKiPfP15HIP_vector_typeIfLj2EEffffjfiS6_IjLj3EEiiiiiiiiiiiliiliiiiil.uses_vcc, 1
	.set _ZL18flash_attn_ext_vecILi256ELi2EL9ggml_type3ELS0_30ELb0EEvPKcS2_S2_S2_S2_PKiPfP15HIP_vector_typeIfLj2EEffffjfiS6_IjLj3EEiiiiiiiiiiiliiliiiiil.uses_flat_scratch, 0
	.set _ZL18flash_attn_ext_vecILi256ELi2EL9ggml_type3ELS0_30ELb0EEvPKcS2_S2_S2_S2_PKiPfP15HIP_vector_typeIfLj2EEffffjfiS6_IjLj3EEiiiiiiiiiiiliiliiiiil.has_dyn_sized_stack, 0
	.set _ZL18flash_attn_ext_vecILi256ELi2EL9ggml_type3ELS0_30ELb0EEvPKcS2_S2_S2_S2_PKiPfP15HIP_vector_typeIfLj2EEffffjfiS6_IjLj3EEiiiiiiiiiiiliiliiiiil.has_recursion, 0
	.set _ZL18flash_attn_ext_vecILi256ELi2EL9ggml_type3ELS0_30ELb0EEvPKcS2_S2_S2_S2_PKiPfP15HIP_vector_typeIfLj2EEffffjfiS6_IjLj3EEiiiiiiiiiiiliiliiiiil.has_indirect_call, 0
	.section	.AMDGPU.csdata,"",@progbits
; Kernel info:
; codeLenInByte = 22568
; TotalNumSgprs: 61
; NumVgprs: 166
; NumAgprs: 0
; TotalNumVgprs: 166
; ScratchSize: 144
; MemoryBound: 0
; FloatMode: 240
; IeeeMode: 1
; LDSByteSize: 8704 bytes/workgroup (compile time only)
; SGPRBlocks: 7
; VGPRBlocks: 20
; NumSGPRsForWavesPerEU: 61
; NumVGPRsForWavesPerEU: 166
; AccumOffset: 168
; Occupancy: 3
; WaveLimiterHint : 0
; COMPUTE_PGM_RSRC2:SCRATCH_EN: 1
; COMPUTE_PGM_RSRC2:USER_SGPR: 2
; COMPUTE_PGM_RSRC2:TRAP_HANDLER: 0
; COMPUTE_PGM_RSRC2:TGID_X_EN: 1
; COMPUTE_PGM_RSRC2:TGID_Y_EN: 1
; COMPUTE_PGM_RSRC2:TGID_Z_EN: 1
; COMPUTE_PGM_RSRC2:TIDIG_COMP_CNT: 1
; COMPUTE_PGM_RSRC3_GFX90A:ACCUM_OFFSET: 41
; COMPUTE_PGM_RSRC3_GFX90A:TG_SPLIT: 0
	.section	.text._ZL33flash_attn_stream_k_fixup_uniformILi256ELi2ELi1EEvPfPK15HIP_vector_typeIfLj2EEiiiiiiS1_IjLj3EES5_S5_,"axG",@progbits,_ZL33flash_attn_stream_k_fixup_uniformILi256ELi2ELi1EEvPfPK15HIP_vector_typeIfLj2EEiiiiiiS1_IjLj3EES5_S5_,comdat
	.globl	_ZL33flash_attn_stream_k_fixup_uniformILi256ELi2ELi1EEvPfPK15HIP_vector_typeIfLj2EEiiiiiiS1_IjLj3EES5_S5_ ; -- Begin function _ZL33flash_attn_stream_k_fixup_uniformILi256ELi2ELi1EEvPfPK15HIP_vector_typeIfLj2EEiiiiiiS1_IjLj3EES5_S5_
	.p2align	8
	.type	_ZL33flash_attn_stream_k_fixup_uniformILi256ELi2ELi1EEvPfPK15HIP_vector_typeIfLj2EEiiiiiiS1_IjLj3EES5_S5_,@function
_ZL33flash_attn_stream_k_fixup_uniformILi256ELi2ELi1EEvPfPK15HIP_vector_typeIfLj2EEiiiiiiS1_IjLj3EES5_S5_: ; @_ZL33flash_attn_stream_k_fixup_uniformILi256ELi2ELi1EEvPfPK15HIP_vector_typeIfLj2EEiiiiiiS1_IjLj3EES5_S5_
; %bb.0:
	s_load_dwordx8 s[8:15], s[0:1], 0x1c
	s_load_dwordx2 s[6:7], s[0:1], 0x10
	s_load_dwordx4 s[20:23], s[0:1], 0x3c
	s_waitcnt lgkmcnt(0)
	s_mul_hi_u32 s5, s11, s2
	s_add_i32 s5, s2, s5
	s_lshr_b32 s5, s5, s12
	s_mul_i32 s11, s5, s13
	s_sub_i32 s11, s2, s11
	s_mul_hi_u32 s12, s11, s14
	s_add_i32 s12, s11, s12
	s_lshr_b32 s16, s12, s15
	s_mul_i32 s12, s16, s20
	s_sub_i32 s12, s11, s12
	;; [unrolled: 5-line block ×3, first 2 shown]
	s_lshl_b32 s12, s17, 1
	s_add_i32 s12, s12, s3
	s_cmp_lt_i32 s12, s6
	s_cselect_b64 s[12:13], -1, 0
	s_add_i32 s14, s11, s4
	s_cmp_lt_i32 s14, s9
	s_cselect_b64 s[14:15], -1, 0
	s_and_b64 s[12:13], s[12:13], s[14:15]
	s_andn2_b64 vcc, exec, s[12:13]
	s_cbranch_vccnz .LBB29_6
; %bb.1:
	s_load_dwordx4 s[12:15], s[0:1], 0x0
	s_mul_i32 s0, s5, s6
	s_add_i32 s0, s0, s3
	s_mul_i32 s0, s0, s7
	s_mul_i32 s16, s16, s9
	s_add_i32 s0, s0, s4
	s_add_i32 s0, s0, s16
	s_mul_i32 s1, s7, s17
	s_add_i32 s0, s0, s11
	s_lshl_b32 s1, s1, 9
	s_lshl_b32 s0, s0, 8
	s_add_i32 s1, s1, s0
	v_or_b32_e32 v4, s1, v0
	s_waitcnt lgkmcnt(0)
	v_mov_b32_e32 v2, s12
	v_mov_b32_e32 v3, s13
	v_ashrrev_i32_e32 v5, 31, v4
	v_lshl_add_u64 v[2:3], v[4:5], 2, v[2:3]
	global_load_dword v5, v[2:3], off
	s_mul_i32 s6, s10, s2
	s_add_i32 s7, s6, s10
	s_add_i32 s3, s3, s4
	s_lshl_b32 s0, s7, 1
	s_add_i32 s0, s3, s0
	s_add_i32 s0, s0, -2
	s_ashr_i32 s1, s0, 31
	s_lshl_b64 s[0:1], s[0:1], 3
	s_add_u32 s0, s14, s0
	s_addc_u32 s1, s15, s1
	s_load_dword s9, s[0:1], 0x4
	s_add_i32 s4, s7, -2
	s_cmp_lt_i32 s4, s6
	s_cbranch_scc1 .LBB29_4
; %bb.2:
	s_lshl_b32 s4, s8, 3
	s_ashr_i32 s5, s4, 31
	s_lshl_b64 s[4:5], s[4:5], 2
	s_add_u32 s4, s14, s4
	s_addc_u32 s5, s15, s5
	s_add_i32 s2, s2, 1
	s_mul_i32 s2, s10, s2
	s_load_dword s0, s[0:1], 0x0
	s_lshl_b32 s1, s3, 8
	s_lshl_b32 s10, s2, 9
	s_add_i32 s1, s1, s10
	v_or_b32_e32 v0, s1, v0
	s_lshl_b32 s1, s2, 1
	s_add_i32 s1, s3, s1
	s_lshl_b32 s2, s8, 1
	s_add_i32 s1, s1, s2
	s_add_i32 s7, s7, -1
	v_add_u32_e32 v0, 0xfffffc00, v0
	s_add_i32 s2, s1, -4
	s_waitcnt lgkmcnt(0)
	v_mov_b32_e32 v7, s0
	v_mov_b32_e32 v4, s9
	s_mov_b32 s8, 0x3fb8aa3b
	s_mov_b32 s9, 0xc2ce8ed0
	s_mov_b32 s10, 0x42b17218
	v_mov_b32_e32 v6, 0x7f800000
	s_mov_b32 s11, 0xc1a00000
.LBB29_3:                               ; =>This Inner Loop Header: Depth=1
	v_ashrrev_i32_e32 v1, 31, v0
	v_lshl_add_u64 v[8:9], v[0:1], 2, s[4:5]
	global_load_dword v9, v[8:9], off
	s_ashr_i32 s3, s2, 31
	s_lshl_b64 s[0:1], s[2:3], 3
	s_add_u32 s0, s14, s0
	s_addc_u32 s1, s15, s1
	s_load_dwordx2 s[0:1], s[0:1], 0x0
	v_max_f32_e32 v1, v7, v7
	s_add_i32 s7, s7, -1
	s_add_i32 s2, s2, -2
	v_add_u32_e32 v0, 0xfffffe00, v0
	s_waitcnt lgkmcnt(0)
	v_max_f32_e64 v10, s0, s0
	v_max_f32_e32 v1, v1, v10
	v_sub_f32_e32 v11, s0, v1
	v_sub_f32_e32 v10, v7, v1
	v_mul_f32_e32 v12, 0x3fb8aa3b, v11
	v_mov_b32_e32 v7, v1
	v_mul_f32_e32 v1, 0x3fb8aa3b, v10
	v_fma_f32 v15, v11, s8, -v12
	v_rndne_f32_e32 v16, v12
	v_fma_f32 v13, v10, s8, -v1
	v_rndne_f32_e32 v14, v1
	v_fmac_f32_e32 v15, 0x32a5705f, v11
	v_sub_f32_e32 v12, v12, v16
	v_fmac_f32_e32 v13, 0x32a5705f, v10
	v_sub_f32_e32 v1, v1, v14
	v_add_f32_e32 v12, v12, v15
	v_cvt_i32_f32_e32 v16, v16
	v_add_f32_e32 v1, v1, v13
	v_exp_f32_e32 v12, v12
	v_cvt_i32_f32_e32 v14, v14
	v_exp_f32_e32 v1, v1
	v_cmp_ngt_f32_e32 vcc, s9, v11
	v_ldexp_f32 v12, v12, v16
	v_mov_b32_e32 v8, s1
	v_ldexp_f32 v1, v1, v14
	v_cmp_ngt_f32_e64 s[0:1], s9, v10
	v_cndmask_b32_e32 v12, 0, v12, vcc
	v_cmp_nlt_f32_e32 vcc, s10, v11
	v_cndmask_b32_e64 v1, 0, v1, s[0:1]
	v_cmp_nlt_f32_e64 s[0:1], s10, v10
	v_cndmask_b32_e32 v12, v6, v12, vcc
	v_cmp_le_f32_e32 vcc, s11, v11
	v_cndmask_b32_e64 v1, v6, v1, s[0:1]
	v_cmp_le_f32_e64 s[0:1], s11, v10
	v_cndmask_b32_e32 v12, 0, v12, vcc
	s_cmp_le_i32 s7, s6
	v_cndmask_b32_e64 v10, 0, v1, s[0:1]
	s_waitcnt vmcnt(0)
	v_pk_mul_f32 v[8:9], v[8:9], v[12:13] op_sel_hi:[1,0]
	s_nop 0
	v_pk_fma_f32 v[4:5], v[4:5], v[10:11], v[8:9] op_sel_hi:[1,0,1]
	s_cbranch_scc0 .LBB29_3
	s_branch .LBB29_5
.LBB29_4:
	s_waitcnt lgkmcnt(0)
	v_mov_b32_e32 v4, s9
.LBB29_5:
	s_waitcnt vmcnt(0)
	v_div_scale_f32 v0, s[0:1], v4, v4, v5
	v_rcp_f32_e32 v1, v0
	v_div_scale_f32 v6, vcc, v5, v4, v5
	v_fma_f32 v7, -v0, v1, 1.0
	v_fmac_f32_e32 v1, v7, v1
	v_mul_f32_e32 v7, v6, v1
	v_fma_f32 v8, -v0, v7, v6
	v_fmac_f32_e32 v7, v8, v1
	v_fma_f32 v0, -v0, v7, v6
	v_div_fmas_f32 v0, v0, v1, v7
	v_div_fixup_f32 v0, v0, v4, v5
	global_store_dword v[2:3], v0, off
.LBB29_6:
	s_endpgm
	.section	.rodata,"a",@progbits
	.p2align	6, 0x0
	.amdhsa_kernel _ZL33flash_attn_stream_k_fixup_uniformILi256ELi2ELi1EEvPfPK15HIP_vector_typeIfLj2EEiiiiiiS1_IjLj3EES5_S5_
		.amdhsa_group_segment_fixed_size 0
		.amdhsa_private_segment_fixed_size 0
		.amdhsa_kernarg_size 76
		.amdhsa_user_sgpr_count 2
		.amdhsa_user_sgpr_dispatch_ptr 0
		.amdhsa_user_sgpr_queue_ptr 0
		.amdhsa_user_sgpr_kernarg_segment_ptr 1
		.amdhsa_user_sgpr_dispatch_id 0
		.amdhsa_user_sgpr_kernarg_preload_length 0
		.amdhsa_user_sgpr_kernarg_preload_offset 0
		.amdhsa_user_sgpr_private_segment_size 0
		.amdhsa_uses_dynamic_stack 0
		.amdhsa_enable_private_segment 0
		.amdhsa_system_sgpr_workgroup_id_x 1
		.amdhsa_system_sgpr_workgroup_id_y 1
		.amdhsa_system_sgpr_workgroup_id_z 1
		.amdhsa_system_sgpr_workgroup_info 0
		.amdhsa_system_vgpr_workitem_id 0
		.amdhsa_next_free_vgpr 17
		.amdhsa_next_free_sgpr 24
		.amdhsa_accum_offset 20
		.amdhsa_reserve_vcc 1
		.amdhsa_float_round_mode_32 0
		.amdhsa_float_round_mode_16_64 0
		.amdhsa_float_denorm_mode_32 3
		.amdhsa_float_denorm_mode_16_64 3
		.amdhsa_dx10_clamp 1
		.amdhsa_ieee_mode 1
		.amdhsa_fp16_overflow 0
		.amdhsa_tg_split 0
		.amdhsa_exception_fp_ieee_invalid_op 0
		.amdhsa_exception_fp_denorm_src 0
		.amdhsa_exception_fp_ieee_div_zero 0
		.amdhsa_exception_fp_ieee_overflow 0
		.amdhsa_exception_fp_ieee_underflow 0
		.amdhsa_exception_fp_ieee_inexact 0
		.amdhsa_exception_int_div_zero 0
	.end_amdhsa_kernel
	.section	.text._ZL33flash_attn_stream_k_fixup_uniformILi256ELi2ELi1EEvPfPK15HIP_vector_typeIfLj2EEiiiiiiS1_IjLj3EES5_S5_,"axG",@progbits,_ZL33flash_attn_stream_k_fixup_uniformILi256ELi2ELi1EEvPfPK15HIP_vector_typeIfLj2EEiiiiiiS1_IjLj3EES5_S5_,comdat
.Lfunc_end29:
	.size	_ZL33flash_attn_stream_k_fixup_uniformILi256ELi2ELi1EEvPfPK15HIP_vector_typeIfLj2EEiiiiiiS1_IjLj3EES5_S5_, .Lfunc_end29-_ZL33flash_attn_stream_k_fixup_uniformILi256ELi2ELi1EEvPfPK15HIP_vector_typeIfLj2EEiiiiiiS1_IjLj3EES5_S5_
                                        ; -- End function
	.set _ZL33flash_attn_stream_k_fixup_uniformILi256ELi2ELi1EEvPfPK15HIP_vector_typeIfLj2EEiiiiiiS1_IjLj3EES5_S5_.num_vgpr, 17
	.set _ZL33flash_attn_stream_k_fixup_uniformILi256ELi2ELi1EEvPfPK15HIP_vector_typeIfLj2EEiiiiiiS1_IjLj3EES5_S5_.num_agpr, 0
	.set _ZL33flash_attn_stream_k_fixup_uniformILi256ELi2ELi1EEvPfPK15HIP_vector_typeIfLj2EEiiiiiiS1_IjLj3EES5_S5_.numbered_sgpr, 24
	.set _ZL33flash_attn_stream_k_fixup_uniformILi256ELi2ELi1EEvPfPK15HIP_vector_typeIfLj2EEiiiiiiS1_IjLj3EES5_S5_.num_named_barrier, 0
	.set _ZL33flash_attn_stream_k_fixup_uniformILi256ELi2ELi1EEvPfPK15HIP_vector_typeIfLj2EEiiiiiiS1_IjLj3EES5_S5_.private_seg_size, 0
	.set _ZL33flash_attn_stream_k_fixup_uniformILi256ELi2ELi1EEvPfPK15HIP_vector_typeIfLj2EEiiiiiiS1_IjLj3EES5_S5_.uses_vcc, 1
	.set _ZL33flash_attn_stream_k_fixup_uniformILi256ELi2ELi1EEvPfPK15HIP_vector_typeIfLj2EEiiiiiiS1_IjLj3EES5_S5_.uses_flat_scratch, 0
	.set _ZL33flash_attn_stream_k_fixup_uniformILi256ELi2ELi1EEvPfPK15HIP_vector_typeIfLj2EEiiiiiiS1_IjLj3EES5_S5_.has_dyn_sized_stack, 0
	.set _ZL33flash_attn_stream_k_fixup_uniformILi256ELi2ELi1EEvPfPK15HIP_vector_typeIfLj2EEiiiiiiS1_IjLj3EES5_S5_.has_recursion, 0
	.set _ZL33flash_attn_stream_k_fixup_uniformILi256ELi2ELi1EEvPfPK15HIP_vector_typeIfLj2EEiiiiiiS1_IjLj3EES5_S5_.has_indirect_call, 0
	.section	.AMDGPU.csdata,"",@progbits
; Kernel info:
; codeLenInByte = 816
; TotalNumSgprs: 30
; NumVgprs: 17
; NumAgprs: 0
; TotalNumVgprs: 17
; ScratchSize: 0
; MemoryBound: 0
; FloatMode: 240
; IeeeMode: 1
; LDSByteSize: 0 bytes/workgroup (compile time only)
; SGPRBlocks: 3
; VGPRBlocks: 2
; NumSGPRsForWavesPerEU: 30
; NumVGPRsForWavesPerEU: 17
; AccumOffset: 20
; Occupancy: 8
; WaveLimiterHint : 0
; COMPUTE_PGM_RSRC2:SCRATCH_EN: 0
; COMPUTE_PGM_RSRC2:USER_SGPR: 2
; COMPUTE_PGM_RSRC2:TRAP_HANDLER: 0
; COMPUTE_PGM_RSRC2:TGID_X_EN: 1
; COMPUTE_PGM_RSRC2:TGID_Y_EN: 1
; COMPUTE_PGM_RSRC2:TGID_Z_EN: 1
; COMPUTE_PGM_RSRC2:TIDIG_COMP_CNT: 0
; COMPUTE_PGM_RSRC3_GFX90A:ACCUM_OFFSET: 4
; COMPUTE_PGM_RSRC3_GFX90A:TG_SPLIT: 0
	.section	.text._ZL33flash_attn_stream_k_fixup_generalILi256ELi2ELi1EEvPfPK15HIP_vector_typeIfLj2EEiiiiS1_IjLj3EES5_S5_S5_,"axG",@progbits,_ZL33flash_attn_stream_k_fixup_generalILi256ELi2ELi1EEvPfPK15HIP_vector_typeIfLj2EEiiiiS1_IjLj3EES5_S5_S5_,comdat
	.globl	_ZL33flash_attn_stream_k_fixup_generalILi256ELi2ELi1EEvPfPK15HIP_vector_typeIfLj2EEiiiiS1_IjLj3EES5_S5_S5_ ; -- Begin function _ZL33flash_attn_stream_k_fixup_generalILi256ELi2ELi1EEvPfPK15HIP_vector_typeIfLj2EEiiiiS1_IjLj3EES5_S5_S5_
	.p2align	8
	.type	_ZL33flash_attn_stream_k_fixup_generalILi256ELi2ELi1EEvPfPK15HIP_vector_typeIfLj2EEiiiiS1_IjLj3EES5_S5_S5_,@function
_ZL33flash_attn_stream_k_fixup_generalILi256ELi2ELi1EEvPfPK15HIP_vector_typeIfLj2EEiiiiS1_IjLj3EES5_S5_S5_: ; @_ZL33flash_attn_stream_k_fixup_generalILi256ELi2ELi1EEvPfPK15HIP_vector_typeIfLj2EEiiiiS1_IjLj3EES5_S5_S5_
; %bb.0:
	s_load_dwordx4 s[8:11], s[0:1], 0x10
	s_load_dword s22, s[0:1], 0x50
	s_mov_b32 s12, 0
	s_waitcnt lgkmcnt(0)
	s_mul_hi_i32 s13, s11, s2
	s_cmp_lg_u64 s[12:13], 0
	s_mul_i32 s5, s11, s2
	s_cbranch_scc0 .LBB30_20
; %bb.1:
	s_add_u32 s6, s22, 0
	s_addc_u32 s7, 0, 0
	s_xor_b64 s[6:7], s[6:7], 0
	v_cvt_f32_u32_e32 v1, s6
	v_cvt_f32_u32_e32 v2, s7
	s_sub_u32 s12, 0, s6
	s_subb_u32 s18, 0, s7
	v_fmamk_f32 v1, v2, 0x4f800000, v1
	v_rcp_f32_e32 v1, v1
	s_nop 0
	v_mul_f32_e32 v1, 0x5f7ffffc, v1
	v_mul_f32_e32 v2, 0x2f800000, v1
	v_trunc_f32_e32 v2, v2
	v_fmamk_f32 v1, v2, 0xcf800000, v1
	v_cvt_u32_f32_e32 v2, v2
	v_cvt_u32_f32_e32 v1, v1
	v_readfirstlane_b32 s19, v2
	v_readfirstlane_b32 s14, v1
	s_mul_i32 s15, s12, s19
	s_mul_hi_u32 s21, s12, s14
	s_mul_i32 s20, s18, s14
	s_add_i32 s15, s21, s15
	s_add_i32 s15, s15, s20
	s_mul_i32 s23, s12, s14
	s_mul_i32 s21, s14, s15
	s_mul_hi_u32 s24, s14, s23
	s_mul_hi_u32 s20, s14, s15
	s_add_u32 s21, s24, s21
	s_addc_u32 s20, 0, s20
	s_mul_hi_u32 s25, s19, s23
	s_mul_i32 s23, s19, s23
	s_add_u32 s21, s21, s23
	s_mul_hi_u32 s24, s19, s15
	s_addc_u32 s20, s20, s25
	s_addc_u32 s21, s24, 0
	s_mul_i32 s15, s19, s15
	s_add_u32 s15, s20, s15
	s_addc_u32 s20, 0, s21
	s_add_u32 s21, s14, s15
	s_cselect_b64 s[14:15], -1, 0
	s_cmp_lg_u64 s[14:15], 0
	s_addc_u32 s19, s19, s20
	s_mul_i32 s14, s12, s19
	s_mul_hi_u32 s15, s12, s21
	s_add_i32 s14, s15, s14
	s_mul_i32 s18, s18, s21
	s_add_i32 s14, s14, s18
	s_mul_i32 s12, s12, s21
	s_mul_hi_u32 s18, s19, s12
	s_mul_i32 s20, s19, s12
	s_mul_i32 s24, s21, s14
	s_mul_hi_u32 s12, s21, s12
	s_mul_hi_u32 s23, s21, s14
	s_add_u32 s12, s12, s24
	s_addc_u32 s23, 0, s23
	s_add_u32 s12, s12, s20
	s_mul_hi_u32 s15, s19, s14
	s_addc_u32 s12, s23, s18
	s_addc_u32 s15, s15, 0
	s_mul_i32 s14, s19, s14
	s_add_u32 s12, s12, s14
	s_addc_u32 s18, 0, s15
	s_add_u32 s20, s21, s12
	s_cselect_b64 s[14:15], -1, 0
	s_cmp_lg_u64 s[14:15], 0
	s_addc_u32 s18, s19, s18
	s_ashr_i32 s14, s13, 31
	s_add_u32 s12, s5, s14
	s_mov_b32 s15, s14
	s_addc_u32 s13, s13, s14
	s_xor_b64 s[12:13], s[12:13], s[14:15]
	s_mul_i32 s21, s12, s18
	s_mul_hi_u32 s23, s12, s20
	s_mul_hi_u32 s19, s12, s18
	s_add_u32 s21, s23, s21
	s_addc_u32 s19, 0, s19
	s_mul_hi_u32 s24, s13, s20
	s_mul_i32 s20, s13, s20
	s_add_u32 s20, s21, s20
	s_mul_hi_u32 s23, s13, s18
	s_addc_u32 s19, s19, s24
	s_addc_u32 s20, s23, 0
	s_mul_i32 s18, s13, s18
	s_add_u32 s23, s19, s18
	s_addc_u32 s24, 0, s20
	s_mul_i32 s18, s6, s24
	s_mul_hi_u32 s19, s6, s23
	s_add_i32 s18, s19, s18
	s_mul_i32 s19, s7, s23
	s_add_i32 s25, s18, s19
	s_sub_i32 s20, s13, s25
	s_mul_i32 s18, s6, s23
	s_sub_u32 s12, s12, s18
	s_cselect_b64 s[18:19], -1, 0
	s_cmp_lg_u64 s[18:19], 0
	s_subb_u32 s26, s20, s7
	s_sub_u32 s27, s12, s6
	s_cselect_b64 s[20:21], -1, 0
	s_cmp_lg_u64 s[20:21], 0
	s_subb_u32 s20, s26, 0
	s_cmp_ge_u32 s20, s7
	s_cselect_b32 s21, -1, 0
	s_cmp_ge_u32 s27, s6
	s_cselect_b32 s26, -1, 0
	s_cmp_eq_u32 s20, s7
	s_cselect_b32 s20, s26, s21
	s_add_u32 s21, s23, 1
	s_addc_u32 s26, s24, 0
	s_add_u32 s27, s23, 2
	s_addc_u32 s28, s24, 0
	s_cmp_lg_u32 s20, 0
	s_cselect_b32 s20, s27, s21
	s_cselect_b32 s21, s28, s26
	s_cmp_lg_u64 s[18:19], 0
	s_subb_u32 s13, s13, s25
	s_cmp_ge_u32 s13, s7
	s_cselect_b32 s18, -1, 0
	s_cmp_ge_u32 s12, s6
	s_cselect_b32 s6, -1, 0
	s_cmp_eq_u32 s13, s7
	s_cselect_b32 s6, s6, s18
	s_cmp_lg_u32 s6, 0
	s_cselect_b32 s7, s21, s24
	s_cselect_b32 s6, s20, s23
	s_xor_b64 s[12:13], s[14:15], 0
	s_xor_b64 s[6:7], s[6:7], s[12:13]
	s_sub_u32 s6, s6, s12
	s_load_dwordx4 s[12:15], s[0:1], 0x44
	s_cbranch_execnz .LBB30_3
.LBB30_2:
	v_cvt_f32_u32_e32 v1, s22
	s_sub_i32 s6, 0, s22
	v_rcp_iflag_f32_e32 v1, v1
	s_nop 0
	v_mul_f32_e32 v1, 0x4f7ffffe, v1
	v_cvt_u32_f32_e32 v1, v1
	s_nop 0
	v_readfirstlane_b32 s7, v1
	s_mul_i32 s6, s6, s7
	s_mul_hi_u32 s6, s7, s6
	s_add_i32 s7, s7, s6
	s_mul_hi_u32 s6, s5, s7
	s_waitcnt lgkmcnt(0)
	s_mul_i32 s15, s6, s22
	s_sub_i32 s5, s5, s15
	s_add_i32 s7, s6, 1
	s_sub_i32 s15, s5, s22
	s_cmp_ge_u32 s5, s22
	s_cselect_b32 s6, s7, s6
	s_cselect_b32 s5, s15, s5
	s_add_i32 s7, s6, 1
	s_cmp_ge_u32 s5, s22
	s_cselect_b32 s6, s7, s6
.LBB30_3:
	s_add_i32 s5, s2, 1
	s_mul_hi_i32 s21, s11, s5
	s_mov_b32 s20, 0
	s_cmp_lg_u64 s[20:21], 0
	s_mul_i32 s5, s11, s5
	s_cbranch_scc0 .LBB30_21
; %bb.4:
	s_add_u32 s16, s22, 0
	s_addc_u32 s17, 0, 0
	s_xor_b64 s[18:19], s[16:17], 0
	v_cvt_f32_u32_e32 v1, s18
	v_cvt_f32_u32_e32 v2, s19
	s_sub_u32 s7, 0, s18
	s_waitcnt lgkmcnt(0)
	s_subb_u32 s15, 0, s19
	v_fmamk_f32 v1, v2, 0x4f800000, v1
	v_rcp_f32_e32 v1, v1
	s_nop 0
	v_mul_f32_e32 v1, 0x5f7ffffc, v1
	v_mul_f32_e32 v2, 0x2f800000, v1
	v_trunc_f32_e32 v2, v2
	v_fmamk_f32 v1, v2, 0xcf800000, v1
	v_cvt_u32_f32_e32 v2, v2
	v_cvt_u32_f32_e32 v1, v1
	v_readfirstlane_b32 s20, v2
	v_readfirstlane_b32 s23, v1
	s_mul_i32 s24, s7, s20
	s_mul_hi_u32 s26, s7, s23
	s_mul_i32 s25, s15, s23
	s_add_i32 s24, s26, s24
	s_add_i32 s24, s24, s25
	s_mul_i32 s27, s7, s23
	s_mul_i32 s26, s23, s24
	s_mul_hi_u32 s28, s23, s27
	s_mul_hi_u32 s25, s23, s24
	s_add_u32 s26, s28, s26
	s_addc_u32 s25, 0, s25
	s_mul_hi_u32 s29, s20, s27
	s_mul_i32 s27, s20, s27
	s_add_u32 s26, s26, s27
	s_mul_hi_u32 s28, s20, s24
	s_addc_u32 s25, s25, s29
	s_addc_u32 s26, s28, 0
	s_mul_i32 s24, s20, s24
	s_add_u32 s24, s25, s24
	s_addc_u32 s26, 0, s26
	s_add_u32 s23, s23, s24
	s_cselect_b64 s[24:25], -1, 0
	s_cmp_lg_u64 s[24:25], 0
	s_addc_u32 s20, s20, s26
	s_mul_i32 s24, s7, s20
	s_mul_hi_u32 s25, s7, s23
	s_add_i32 s24, s25, s24
	s_mul_i32 s15, s15, s23
	s_add_i32 s24, s24, s15
	s_mul_i32 s7, s7, s23
	s_mul_hi_u32 s25, s20, s7
	s_mul_i32 s26, s20, s7
	s_mul_i32 s28, s23, s24
	s_mul_hi_u32 s7, s23, s7
	s_mul_hi_u32 s27, s23, s24
	s_add_u32 s7, s7, s28
	s_addc_u32 s27, 0, s27
	s_add_u32 s7, s7, s26
	s_mul_hi_u32 s15, s20, s24
	s_addc_u32 s7, s27, s25
	s_addc_u32 s15, s15, 0
	s_mul_i32 s24, s20, s24
	s_add_u32 s7, s7, s24
	s_addc_u32 s15, 0, s15
	s_add_u32 s7, s23, s7
	s_cselect_b64 s[24:25], -1, 0
	s_cmp_lg_u64 s[24:25], 0
	s_addc_u32 s15, s20, s15
	s_ashr_i32 s24, s21, 31
	s_add_u32 s20, s5, s24
	s_mov_b32 s25, s24
	s_addc_u32 s21, s21, s24
	s_xor_b64 s[20:21], s[20:21], s[24:25]
	s_mul_i32 s26, s20, s15
	s_mul_hi_u32 s27, s20, s7
	s_mul_hi_u32 s23, s20, s15
	s_add_u32 s26, s27, s26
	s_addc_u32 s23, 0, s23
	s_mul_hi_u32 s28, s21, s7
	s_mul_i32 s7, s21, s7
	s_add_u32 s7, s26, s7
	s_mul_hi_u32 s27, s21, s15
	s_addc_u32 s7, s23, s28
	s_addc_u32 s23, s27, 0
	s_mul_i32 s15, s21, s15
	s_add_u32 s7, s7, s15
	s_addc_u32 s15, 0, s23
	s_mul_i32 s23, s18, s15
	s_mul_hi_u32 s26, s18, s7
	s_add_i32 s23, s26, s23
	s_mul_i32 s26, s19, s7
	s_add_i32 s23, s23, s26
	s_sub_i32 s28, s21, s23
	s_mul_i32 s26, s18, s7
	s_sub_u32 s20, s20, s26
	s_cselect_b64 s[26:27], -1, 0
	s_cmp_lg_u64 s[26:27], 0
	s_subb_u32 s30, s28, s19
	s_sub_u32 s31, s20, s18
	s_cselect_b64 s[28:29], -1, 0
	s_cmp_lg_u64 s[28:29], 0
	s_subb_u32 s28, s30, 0
	s_cmp_ge_u32 s28, s19
	s_cselect_b32 s29, -1, 0
	s_cmp_ge_u32 s31, s18
	s_cselect_b32 s30, -1, 0
	s_cmp_eq_u32 s28, s19
	s_cselect_b32 s28, s30, s29
	s_add_u32 s29, s7, 1
	s_addc_u32 s30, s15, 0
	s_add_u32 s31, s7, 2
	s_addc_u32 s33, s15, 0
	s_cmp_lg_u32 s28, 0
	s_cselect_b32 s28, s31, s29
	s_cselect_b32 s29, s33, s30
	s_cmp_lg_u64 s[26:27], 0
	s_subb_u32 s21, s21, s23
	s_cmp_ge_u32 s21, s19
	s_cselect_b32 s23, -1, 0
	s_cmp_ge_u32 s20, s18
	s_cselect_b32 s18, -1, 0
	s_cmp_eq_u32 s21, s19
	s_cselect_b32 s18, s18, s23
	s_cmp_lg_u32 s18, 0
	s_cselect_b32 s19, s29, s15
	s_cselect_b32 s18, s28, s7
	s_xor_b64 s[20:21], s[24:25], 0
	s_xor_b64 s[18:19], s[18:19], s[20:21]
	s_sub_u32 s18, s18, s20
	s_cbranch_execnz .LBB30_6
.LBB30_5:
	v_cvt_f32_u32_e32 v1, s22
	s_sub_i32 s7, 0, s22
	v_rcp_iflag_f32_e32 v1, v1
	s_nop 0
	v_mul_f32_e32 v1, 0x4f7ffffe, v1
	v_cvt_u32_f32_e32 v1, v1
	s_waitcnt lgkmcnt(0)
	v_readfirstlane_b32 s15, v1
	s_mul_i32 s7, s7, s15
	s_mul_hi_u32 s7, s15, s7
	s_add_i32 s15, s15, s7
	s_mul_hi_u32 s7, s5, s15
	s_mul_i32 s16, s7, s22
	s_sub_i32 s5, s5, s16
	s_add_i32 s15, s7, 1
	s_sub_i32 s16, s5, s22
	s_cmp_ge_u32 s5, s22
	s_cselect_b32 s7, s15, s7
	s_cselect_b32 s5, s16, s5
	s_add_i32 s15, s7, 1
	s_cmp_ge_u32 s5, s22
	s_cselect_b32 s18, s15, s7
.LBB30_6:
	s_cmp_eq_u32 s6, s18
	s_waitcnt lgkmcnt(0)
	s_mul_hi_u32 s5, s6, s12
	s_cselect_b64 s[16:17], -1, 0
	s_add_i32 s5, s5, s6
	s_lshr_b32 s7, s5, s13
	s_mul_i32 s5, s7, s14
	s_cmp_eq_u32 s5, s6
	s_mul_hi_u32 s5, s18, s12
	s_cselect_b64 s[20:21], -1, 0
	s_add_i32 s5, s5, s18
	s_lshr_b32 s5, s5, s13
	s_cmp_eq_u32 s7, s5
	s_mul_i32 s5, s5, s14
	s_cselect_b64 s[24:25], -1, 0
	s_cmp_lg_u32 s5, s18
	s_cselect_b64 s[18:19], -1, 0
	s_and_b64 s[18:19], s[24:25], s[18:19]
	s_or_b64 s[16:17], s[16:17], s[20:21]
	s_or_b64 s[16:17], s[16:17], s[18:19]
	s_and_b64 vcc, exec, s[16:17]
	s_cbranch_vccnz .LBB30_23
; %bb.7:
	s_load_dwordx8 s[24:31], s[0:1], 0x20
	s_load_dword s15, s[0:1], 0x40
	s_waitcnt lgkmcnt(0)
	s_mul_hi_u32 s5, s6, s24
	s_add_i32 s5, s5, s6
	s_lshr_b32 s5, s5, s25
	s_mul_i32 s16, s5, s26
	s_sub_i32 s16, s6, s16
	s_mul_hi_u32 s17, s16, s27
	s_add_i32 s17, s16, s17
	s_lshr_b32 s21, s17, s28
	s_mul_i32 s17, s21, s29
	s_sub_i32 s16, s16, s17
	;; [unrolled: 5-line block ×3, first 2 shown]
	s_mul_hi_u32 s16, s15, s12
	s_add_i32 s15, s15, s16
	s_lshr_b32 s23, s15, s13
	s_lshl_b32 s15, s23, 1
	s_add_i32 s15, s15, s3
	s_cmp_lt_i32 s15, s8
	s_cselect_b64 s[16:17], -1, 0
	s_add_i32 s15, s20, s4
	s_cmp_lt_i32 s15, s10
	s_cselect_b64 s[18:19], -1, 0
	s_and_b64 s[16:17], s[16:17], s[18:19]
	s_andn2_b64 vcc, exec, s[16:17]
	s_cbranch_vccnz .LBB30_23
; %bb.8:
	s_load_dwordx4 s[16:19], s[0:1], 0x0
	s_mov_b32 s0, 0
	s_lshl_b32 s24, s22, 3
	s_mov_b32 s25, s0
	s_add_i32 s15, s3, s4
	s_waitcnt lgkmcnt(0)
	v_mov_b32_e32 v2, s16
	v_mov_b32_e32 v3, s17
	s_lshl_b64 s[16:17], s[24:25], 2
	s_add_u32 s16, s18, s16
	s_mul_i32 s1, s5, s8
	s_addc_u32 s17, s19, s17
	s_add_i32 s1, s1, s3
	s_mul_i32 s1, s1, s9
	s_mul_i32 s21, s21, s10
	s_add_i32 s1, s1, s4
	s_add_i32 s1, s1, s21
	s_mul_i32 s5, s9, s23
	s_add_i32 s1, s1, s20
	s_lshl_b32 s5, s5, 9
	s_lshl_b32 s1, s1, 8
	s_add_i32 s5, s5, s1
	v_or_b32_e32 v4, s5, v0
	v_ashrrev_i32_e32 v5, 31, v4
	v_lshl_add_u64 v[2:3], v[4:5], 2, v[2:3]
	global_load_dword v1, v[2:3], off
	v_cvt_f32_u32_e32 v4, s22
	s_lshl_b32 s1, s2, 1
	s_add_i32 s4, s1, s15
	s_ashr_i32 s5, s4, 31
	s_lshl_b64 s[4:5], s[4:5], 3
	v_rcp_iflag_f32_e32 v4, v4
	s_add_u32 s4, s18, s4
	s_addc_u32 s5, s19, s5
	s_load_dwordx2 s[4:5], s[4:5], 0x0
	v_mul_f32_e32 v4, 0x4f7ffffe, v4
	v_cvt_u32_f32_e32 v7, v4
	s_add_i32 s24, s2, -1
	v_lshl_or_b32 v6, s15, 8, v0
	s_waitcnt lgkmcnt(0)
	v_mov_b32_e32 v0, s5
	v_mov_b32_e32 v9, s4
	s_mov_b32 s10, 0x3fb8aa3b
	s_mov_b32 s20, 0xc2ce8ed0
	;; [unrolled: 1-line block ×4, first 2 shown]
	v_mov_b32_e32 v8, 0x7f800000
	s_mul_hi_i32 s1, s24, s11
	s_cmp_lg_u64 s[0:1], 0
	s_mul_i32 s8, s24, s11
	s_cbranch_scc0 .LBB30_19
.LBB30_9:
	s_add_u32 s2, s22, 0
	s_addc_u32 s3, 0, 0
	s_xor_b64 s[2:3], s[2:3], 0
	v_cvt_f32_u32_e32 v4, s2
	v_cvt_f32_u32_e32 v5, s3
	s_sub_u32 s9, 0, s2
	s_subb_u32 s25, 0, s3
	v_fmac_f32_e32 v4, 0x4f800000, v5
	v_rcp_f32_e32 v4, v4
	s_nop 0
	v_mul_f32_e32 v4, 0x5f7ffffc, v4
	v_mul_f32_e32 v5, 0x2f800000, v4
	v_trunc_f32_e32 v5, v5
	v_fmac_f32_e32 v4, 0xcf800000, v5
	v_cvt_u32_f32_e32 v5, v5
	v_cvt_u32_f32_e32 v4, v4
	v_readfirstlane_b32 s26, v5
	v_readfirstlane_b32 s4, v4
	s_mul_i32 s5, s9, s26
	s_mul_hi_u32 s28, s9, s4
	s_mul_i32 s27, s25, s4
	s_add_i32 s5, s28, s5
	s_mul_i32 s29, s9, s4
	s_add_i32 s5, s5, s27
	s_mul_i32 s28, s4, s5
	s_mul_hi_u32 s30, s4, s29
	s_mul_hi_u32 s27, s4, s5
	s_add_u32 s28, s30, s28
	s_addc_u32 s27, 0, s27
	s_mul_hi_u32 s31, s26, s29
	s_mul_i32 s29, s26, s29
	s_add_u32 s28, s28, s29
	s_mul_hi_u32 s30, s26, s5
	s_addc_u32 s27, s27, s31
	s_addc_u32 s28, s30, 0
	s_mul_i32 s5, s26, s5
	s_add_u32 s5, s27, s5
	s_addc_u32 s27, 0, s28
	s_add_u32 s28, s4, s5
	s_cselect_b64 s[4:5], -1, 0
	s_cmp_lg_u64 s[4:5], 0
	s_addc_u32 s26, s26, s27
	s_mul_i32 s4, s9, s26
	s_mul_hi_u32 s5, s9, s28
	s_add_i32 s4, s5, s4
	s_mul_i32 s25, s25, s28
	s_add_i32 s4, s4, s25
	s_mul_i32 s9, s9, s28
	s_mul_hi_u32 s25, s26, s9
	s_mul_i32 s27, s26, s9
	s_mul_i32 s30, s28, s4
	s_mul_hi_u32 s9, s28, s9
	s_mul_hi_u32 s29, s28, s4
	s_add_u32 s9, s9, s30
	s_addc_u32 s29, 0, s29
	s_add_u32 s9, s9, s27
	s_mul_hi_u32 s5, s26, s4
	s_addc_u32 s9, s29, s25
	s_addc_u32 s5, s5, 0
	s_mul_i32 s4, s26, s4
	s_add_u32 s4, s9, s4
	s_addc_u32 s9, 0, s5
	s_add_u32 s25, s28, s4
	s_cselect_b64 s[4:5], -1, 0
	s_cmp_lg_u64 s[4:5], 0
	s_addc_u32 s9, s26, s9
	s_ashr_i32 s4, s1, 31
	s_add_u32 s26, s8, s4
	s_mov_b32 s5, s4
	s_addc_u32 s27, s1, s4
	s_xor_b64 s[26:27], s[26:27], s[4:5]
	s_mul_i32 s28, s26, s9
	s_mul_hi_u32 s29, s26, s25
	s_mul_hi_u32 s1, s26, s9
	s_add_u32 s28, s29, s28
	s_addc_u32 s1, 0, s1
	s_mul_hi_u32 s30, s27, s25
	s_mul_i32 s25, s27, s25
	s_add_u32 s25, s28, s25
	s_mul_hi_u32 s29, s27, s9
	s_addc_u32 s1, s1, s30
	s_addc_u32 s25, s29, 0
	s_mul_i32 s9, s27, s9
	s_add_u32 s1, s1, s9
	s_addc_u32 s9, 0, s25
	s_mul_i32 s25, s2, s9
	s_mul_hi_u32 s28, s2, s1
	s_add_i32 s25, s28, s25
	s_mul_i32 s28, s3, s1
	s_add_i32 s25, s25, s28
	s_sub_i32 s30, s27, s25
	s_mul_i32 s28, s2, s1
	s_sub_u32 s26, s26, s28
	s_cselect_b64 s[28:29], -1, 0
	s_cmp_lg_u64 s[28:29], 0
	s_subb_u32 s33, s30, s3
	s_sub_u32 s34, s26, s2
	s_cselect_b64 s[30:31], -1, 0
	s_cmp_lg_u64 s[30:31], 0
	s_subb_u32 s30, s33, 0
	s_cmp_ge_u32 s30, s3
	s_cselect_b32 s31, -1, 0
	s_cmp_ge_u32 s34, s2
	s_cselect_b32 s33, -1, 0
	s_cmp_eq_u32 s30, s3
	s_cselect_b32 s30, s33, s31
	s_add_u32 s31, s1, 1
	s_addc_u32 s33, s9, 0
	s_add_u32 s34, s1, 2
	s_addc_u32 s35, s9, 0
	s_cmp_lg_u32 s30, 0
	s_cselect_b32 s30, s34, s31
	s_cselect_b32 s31, s35, s33
	s_cmp_lg_u64 s[28:29], 0
	s_subb_u32 s25, s27, s25
	s_cmp_ge_u32 s25, s3
	s_cselect_b32 s27, -1, 0
	s_cmp_ge_u32 s26, s2
	s_cselect_b32 s2, -1, 0
	s_cmp_eq_u32 s25, s3
	s_cselect_b32 s2, s2, s27
	s_cmp_lg_u32 s2, 0
	s_cselect_b32 s3, s31, s9
	s_cselect_b32 s2, s30, s1
	s_xor_b64 s[4:5], s[4:5], 0
	s_xor_b64 s[2:3], s[2:3], s[4:5]
	s_sub_u32 s4, s2, s4
	s_cbranch_execnz .LBB30_11
.LBB30_10:
	s_sub_i32 s1, 0, s22
	v_readfirstlane_b32 s2, v7
	s_mul_i32 s1, s1, s2
	s_mul_hi_u32 s1, s2, s1
	s_add_i32 s2, s2, s1
	s_mul_hi_u32 s1, s8, s2
	s_mul_i32 s3, s1, s22
	s_sub_i32 s3, s8, s3
	s_add_i32 s2, s1, 1
	s_sub_i32 s4, s3, s22
	s_cmp_ge_u32 s3, s22
	s_cselect_b32 s1, s2, s1
	s_cselect_b32 s3, s4, s3
	s_add_i32 s2, s1, 1
	s_cmp_ge_u32 s3, s22
	s_cselect_b32 s4, s2, s1
.LBB30_11:
	s_cmp_lg_u32 s6, s4
	s_cbranch_scc0 .LBB30_15
; %bb.12:
	s_add_i32 s1, s24, s22
	s_lshl_b32 s1, s1, 1
	s_add_i32 s2, s1, s15
	s_mov_b32 s3, s0
	s_lshl_b64 s[2:3], s[2:3], 3
	s_add_u32 s8, s18, s2
	s_mul_hi_u32 s1, s4, s12
	s_addc_u32 s9, s19, s3
	s_add_i32 s1, s1, s4
	s_lshr_b32 s1, s1, s13
	s_mul_i32 s2, s1, s14
	s_cmp_eq_u32 s2, s4
	s_cselect_b64 s[2:3], -1, 0
	s_cmp_lt_u32 s1, s7
	s_cselect_b64 s[26:27], -1, 0
	s_or_b64 s[26:27], s[26:27], s[2:3]
	s_mov_b64 s[2:3], -1
	s_and_b64 vcc, exec, s[26:27]
	s_mov_b32 s1, s24
	s_mov_b32 s25, s6
	s_cbranch_vccnz .LBB30_14
; %bb.13:
	s_add_i32 s1, s24, -1
	s_mov_b64 s[2:3], 0
	s_mov_b32 s25, s4
.LBB30_14:
	v_lshl_add_u32 v4, s24, 9, v6
	v_ashrrev_i32_e32 v5, 31, v4
	v_lshl_add_u64 v[4:5], v[4:5], 2, s[16:17]
	global_load_dword v5, v[4:5], off
	s_load_dwordx2 s[4:5], s[8:9], 0x0
	v_max_f32_e32 v4, v9, v9
	s_waitcnt lgkmcnt(0)
	v_max_f32_e64 v10, s4, s4
	v_max_f32_e32 v10, v4, v10
	v_sub_f32_e32 v11, v9, v10
	v_sub_f32_e32 v13, s4, v10
	v_mul_f32_e32 v4, 0x3fb8aa3b, v11
	v_mul_f32_e32 v12, 0x3fb8aa3b, v13
	v_fma_f32 v14, v11, s10, -v4
	v_rndne_f32_e32 v15, v4
	v_fma_f32 v16, v13, s10, -v12
	v_rndne_f32_e32 v17, v12
	v_fmac_f32_e32 v14, 0x32a5705f, v11
	v_sub_f32_e32 v4, v4, v15
	v_fmac_f32_e32 v16, 0x32a5705f, v13
	v_sub_f32_e32 v12, v12, v17
	v_add_f32_e32 v4, v4, v14
	v_cvt_i32_f32_e32 v15, v15
	v_add_f32_e32 v12, v12, v16
	v_exp_f32_e32 v14, v4
	v_cvt_i32_f32_e32 v17, v17
	v_exp_f32_e32 v12, v12
	v_cmp_ngt_f32_e32 vcc, s20, v11
	v_ldexp_f32 v14, v14, v15
	v_mov_b32_e32 v4, s5
	v_ldexp_f32 v12, v12, v17
	v_cndmask_b32_e32 v14, 0, v14, vcc
	v_cmp_ngt_f32_e32 vcc, s20, v13
	s_nop 1
	v_cndmask_b32_e32 v12, 0, v12, vcc
	v_cmp_nlt_f32_e32 vcc, s21, v11
	s_nop 1
	v_cndmask_b32_e32 v14, v8, v14, vcc
	v_cmp_nlt_f32_e32 vcc, s21, v13
	s_nop 1
	v_cndmask_b32_e32 v15, v8, v12, vcc
	v_cmp_le_f32_e32 vcc, s23, v11
	s_nop 1
	v_cndmask_b32_e32 v12, 0, v14, vcc
	v_cmp_le_f32_e32 vcc, s23, v13
	s_nop 1
	v_cndmask_b32_e32 v14, 0, v15, vcc
	s_waitcnt vmcnt(0)
	v_pk_mul_f32 v[4:5], v[4:5], v[14:15] op_sel_hi:[1,0]
	s_nop 0
	v_pk_fma_f32 v[4:5], v[0:1], v[12:13], v[4:5] op_sel_hi:[1,0,1]
	s_cbranch_execz .LBB30_16
	s_branch .LBB30_17
.LBB30_15:
                                        ; implicit-def: $vgpr4_vgpr5
                                        ; implicit-def: $sgpr2_sgpr3
                                        ; implicit-def: $vgpr10
                                        ; implicit-def: $sgpr1
                                        ; implicit-def: $sgpr25
.LBB30_16:
	s_add_i32 s1, s24, -1
	s_mov_b64 s[2:3], 0
	s_mov_b32 s25, s6
	v_mov_b32_e32 v10, v9
	s_waitcnt vmcnt(0)
	v_mov_b64_e32 v[4:5], v[0:1]
.LBB30_17:
	s_andn2_b64 vcc, exec, s[2:3]
	s_cbranch_vccz .LBB30_22
; %bb.18:
	s_mov_b32 s6, s25
	s_mov_b32 s24, s1
	v_mov_b32_e32 v9, v10
	s_waitcnt vmcnt(0)
	v_mov_b64_e32 v[0:1], v[4:5]
	s_mul_hi_i32 s1, s24, s11
	s_cmp_lg_u64 s[0:1], 0
	s_mul_i32 s8, s24, s11
	s_cbranch_scc1 .LBB30_9
.LBB30_19:
                                        ; implicit-def: $sgpr4_sgpr5
	s_branch .LBB30_10
.LBB30_20:
                                        ; implicit-def: $sgpr6_sgpr7
	s_load_dwordx4 s[12:15], s[0:1], 0x44
	s_branch .LBB30_2
.LBB30_21:
                                        ; implicit-def: $sgpr18_sgpr19
	s_branch .LBB30_5
.LBB30_22:
	v_div_scale_f32 v0, s[0:1], v4, v4, v5
	s_waitcnt vmcnt(0)
	v_rcp_f32_e32 v1, v0
	v_div_scale_f32 v6, vcc, v5, v4, v5
	v_fma_f32 v7, -v0, v1, 1.0
	v_fmac_f32_e32 v1, v7, v1
	v_mul_f32_e32 v7, v6, v1
	v_fma_f32 v8, -v0, v7, v6
	v_fmac_f32_e32 v7, v8, v1
	v_fma_f32 v0, -v0, v7, v6
	v_div_fmas_f32 v0, v0, v1, v7
	v_div_fixup_f32 v0, v0, v4, v5
	global_store_dword v[2:3], v0, off
.LBB30_23:
	s_endpgm
	.section	.rodata,"a",@progbits
	.p2align	6, 0x0
	.amdhsa_kernel _ZL33flash_attn_stream_k_fixup_generalILi256ELi2ELi1EEvPfPK15HIP_vector_typeIfLj2EEiiiiS1_IjLj3EES5_S5_S5_
		.amdhsa_group_segment_fixed_size 0
		.amdhsa_private_segment_fixed_size 0
		.amdhsa_kernarg_size 336
		.amdhsa_user_sgpr_count 2
		.amdhsa_user_sgpr_dispatch_ptr 0
		.amdhsa_user_sgpr_queue_ptr 0
		.amdhsa_user_sgpr_kernarg_segment_ptr 1
		.amdhsa_user_sgpr_dispatch_id 0
		.amdhsa_user_sgpr_kernarg_preload_length 0
		.amdhsa_user_sgpr_kernarg_preload_offset 0
		.amdhsa_user_sgpr_private_segment_size 0
		.amdhsa_uses_dynamic_stack 0
		.amdhsa_enable_private_segment 0
		.amdhsa_system_sgpr_workgroup_id_x 1
		.amdhsa_system_sgpr_workgroup_id_y 1
		.amdhsa_system_sgpr_workgroup_id_z 1
		.amdhsa_system_sgpr_workgroup_info 0
		.amdhsa_system_vgpr_workitem_id 0
		.amdhsa_next_free_vgpr 18
		.amdhsa_next_free_sgpr 36
		.amdhsa_accum_offset 20
		.amdhsa_reserve_vcc 1
		.amdhsa_float_round_mode_32 0
		.amdhsa_float_round_mode_16_64 0
		.amdhsa_float_denorm_mode_32 3
		.amdhsa_float_denorm_mode_16_64 3
		.amdhsa_dx10_clamp 1
		.amdhsa_ieee_mode 1
		.amdhsa_fp16_overflow 0
		.amdhsa_tg_split 0
		.amdhsa_exception_fp_ieee_invalid_op 0
		.amdhsa_exception_fp_denorm_src 0
		.amdhsa_exception_fp_ieee_div_zero 0
		.amdhsa_exception_fp_ieee_overflow 0
		.amdhsa_exception_fp_ieee_underflow 0
		.amdhsa_exception_fp_ieee_inexact 0
		.amdhsa_exception_int_div_zero 0
	.end_amdhsa_kernel
	.section	.text._ZL33flash_attn_stream_k_fixup_generalILi256ELi2ELi1EEvPfPK15HIP_vector_typeIfLj2EEiiiiS1_IjLj3EES5_S5_S5_,"axG",@progbits,_ZL33flash_attn_stream_k_fixup_generalILi256ELi2ELi1EEvPfPK15HIP_vector_typeIfLj2EEiiiiS1_IjLj3EES5_S5_S5_,comdat
.Lfunc_end30:
	.size	_ZL33flash_attn_stream_k_fixup_generalILi256ELi2ELi1EEvPfPK15HIP_vector_typeIfLj2EEiiiiS1_IjLj3EES5_S5_S5_, .Lfunc_end30-_ZL33flash_attn_stream_k_fixup_generalILi256ELi2ELi1EEvPfPK15HIP_vector_typeIfLj2EEiiiiS1_IjLj3EES5_S5_S5_
                                        ; -- End function
	.set _ZL33flash_attn_stream_k_fixup_generalILi256ELi2ELi1EEvPfPK15HIP_vector_typeIfLj2EEiiiiS1_IjLj3EES5_S5_S5_.num_vgpr, 18
	.set _ZL33flash_attn_stream_k_fixup_generalILi256ELi2ELi1EEvPfPK15HIP_vector_typeIfLj2EEiiiiS1_IjLj3EES5_S5_S5_.num_agpr, 0
	.set _ZL33flash_attn_stream_k_fixup_generalILi256ELi2ELi1EEvPfPK15HIP_vector_typeIfLj2EEiiiiS1_IjLj3EES5_S5_S5_.numbered_sgpr, 36
	.set _ZL33flash_attn_stream_k_fixup_generalILi256ELi2ELi1EEvPfPK15HIP_vector_typeIfLj2EEiiiiS1_IjLj3EES5_S5_S5_.num_named_barrier, 0
	.set _ZL33flash_attn_stream_k_fixup_generalILi256ELi2ELi1EEvPfPK15HIP_vector_typeIfLj2EEiiiiS1_IjLj3EES5_S5_S5_.private_seg_size, 0
	.set _ZL33flash_attn_stream_k_fixup_generalILi256ELi2ELi1EEvPfPK15HIP_vector_typeIfLj2EEiiiiS1_IjLj3EES5_S5_S5_.uses_vcc, 1
	.set _ZL33flash_attn_stream_k_fixup_generalILi256ELi2ELi1EEvPfPK15HIP_vector_typeIfLj2EEiiiiS1_IjLj3EES5_S5_S5_.uses_flat_scratch, 0
	.set _ZL33flash_attn_stream_k_fixup_generalILi256ELi2ELi1EEvPfPK15HIP_vector_typeIfLj2EEiiiiS1_IjLj3EES5_S5_S5_.has_dyn_sized_stack, 0
	.set _ZL33flash_attn_stream_k_fixup_generalILi256ELi2ELi1EEvPfPK15HIP_vector_typeIfLj2EEiiiiS1_IjLj3EES5_S5_S5_.has_recursion, 0
	.set _ZL33flash_attn_stream_k_fixup_generalILi256ELi2ELi1EEvPfPK15HIP_vector_typeIfLj2EEiiiiS1_IjLj3EES5_S5_S5_.has_indirect_call, 0
	.section	.AMDGPU.csdata,"",@progbits
; Kernel info:
; codeLenInByte = 2932
; TotalNumSgprs: 42
; NumVgprs: 18
; NumAgprs: 0
; TotalNumVgprs: 18
; ScratchSize: 0
; MemoryBound: 0
; FloatMode: 240
; IeeeMode: 1
; LDSByteSize: 0 bytes/workgroup (compile time only)
; SGPRBlocks: 5
; VGPRBlocks: 2
; NumSGPRsForWavesPerEU: 42
; NumVGPRsForWavesPerEU: 18
; AccumOffset: 20
; Occupancy: 8
; WaveLimiterHint : 0
; COMPUTE_PGM_RSRC2:SCRATCH_EN: 0
; COMPUTE_PGM_RSRC2:USER_SGPR: 2
; COMPUTE_PGM_RSRC2:TRAP_HANDLER: 0
; COMPUTE_PGM_RSRC2:TGID_X_EN: 1
; COMPUTE_PGM_RSRC2:TGID_Y_EN: 1
; COMPUTE_PGM_RSRC2:TGID_Z_EN: 1
; COMPUTE_PGM_RSRC2:TIDIG_COMP_CNT: 0
; COMPUTE_PGM_RSRC3_GFX90A:ACCUM_OFFSET: 4
; COMPUTE_PGM_RSRC3_GFX90A:TG_SPLIT: 0
	.section	.text._ZL18flash_attn_ext_vecILi256ELi2EL9ggml_type3ELS0_30ELb1EEvPKcS2_S2_S2_S2_PKiPfP15HIP_vector_typeIfLj2EEffffjfiS6_IjLj3EEiiiiiiiiiiiliiliiiiil,"axG",@progbits,_ZL18flash_attn_ext_vecILi256ELi2EL9ggml_type3ELS0_30ELb1EEvPKcS2_S2_S2_S2_PKiPfP15HIP_vector_typeIfLj2EEffffjfiS6_IjLj3EEiiiiiiiiiiiliiliiiiil,comdat
	.globl	_ZL18flash_attn_ext_vecILi256ELi2EL9ggml_type3ELS0_30ELb1EEvPKcS2_S2_S2_S2_PKiPfP15HIP_vector_typeIfLj2EEffffjfiS6_IjLj3EEiiiiiiiiiiiliiliiiiil ; -- Begin function _ZL18flash_attn_ext_vecILi256ELi2EL9ggml_type3ELS0_30ELb1EEvPKcS2_S2_S2_S2_PKiPfP15HIP_vector_typeIfLj2EEffffjfiS6_IjLj3EEiiiiiiiiiiiliiliiiiil
	.p2align	8
	.type	_ZL18flash_attn_ext_vecILi256ELi2EL9ggml_type3ELS0_30ELb1EEvPKcS2_S2_S2_S2_PKiPfP15HIP_vector_typeIfLj2EEffffjfiS6_IjLj3EEiiiiiiiiiiiliiliiiiil,@function
_ZL18flash_attn_ext_vecILi256ELi2EL9ggml_type3ELS0_30ELb1EEvPKcS2_S2_S2_S2_PKiPfP15HIP_vector_typeIfLj2EEffffjfiS6_IjLj3EEiiiiiiiiiiiliiliiiiil: ; @_ZL18flash_attn_ext_vecILi256ELi2EL9ggml_type3ELS0_30ELb1EEvPKcS2_S2_S2_S2_PKiPfP15HIP_vector_typeIfLj2EEffffjfiS6_IjLj3EEiiiiiiiiiiiliiliiiiil
; %bb.0:
	s_load_dwordx2 s[18:19], s[0:1], 0x64
	s_load_dwordx2 s[52:53], s[0:1], 0x80
	;; [unrolled: 1-line block ×3, first 2 shown]
	v_mov_b32_e32 v127, 1.0
	s_load_dwordx2 s[22:23], s[0:1], 0x50
	s_waitcnt lgkmcnt(0)
	v_cvt_f32_u32_e32 v1, s19
	s_sub_i32 s5, 0, s19
	v_rcp_iflag_f32_e32 v1, v1
	s_nop 0
	v_mul_f32_e32 v1, 0x4f7ffffe, v1
	v_cvt_u32_f32_e32 v1, v1
	s_nop 0
	v_readfirstlane_b32 s6, v1
	s_mul_i32 s5, s5, s6
	s_mul_hi_u32 s5, s6, s5
	s_add_i32 s6, s6, s5
	s_mul_hi_u32 s5, s4, s6
	s_mul_i32 s6, s5, s19
	s_sub_i32 s6, s4, s6
	s_add_i32 s7, s5, 1
	s_sub_i32 s8, s6, s19
	s_cmp_ge_u32 s6, s19
	s_cselect_b32 s5, s7, s5
	s_cselect_b32 s6, s8, s6
	s_add_i32 s7, s5, 1
	s_cmp_ge_u32 s6, s19
	s_cselect_b32 s33, s7, s5
	s_abs_i32 s5, s53
	v_cvt_f32_u32_e32 v1, s5
	s_mul_i32 s12, s33, s19
	s_sub_i32 s13, 0, s5
	s_sub_i32 s20, s4, s12
	v_rcp_iflag_f32_e32 v1, v1
	s_abs_i32 s7, s19
	s_xor_b32 s6, s19, s53
	s_ashr_i32 s6, s6, 31
	v_mul_f32_e32 v1, 0x4f7ffffe, v1
	v_cvt_u32_f32_e32 v1, v1
	s_load_dwordx4 s[8:11], s[0:1], 0x40
	v_readfirstlane_b32 s4, v1
	s_mul_i32 s13, s13, s4
	s_mul_hi_u32 s12, s4, s13
	s_add_i32 s4, s4, s12
	s_mul_hi_u32 s4, s7, s4
	s_mul_i32 s12, s4, s5
	s_sub_i32 s7, s7, s12
	s_add_i32 s13, s4, 1
	s_sub_i32 s12, s7, s5
	s_cmp_ge_u32 s7, s5
	s_cselect_b32 s4, s13, s4
	s_cselect_b32 s7, s12, s7
	s_add_i32 s12, s4, 1
	s_cmp_ge_u32 s7, s5
	s_cselect_b32 s4, s12, s4
	s_xor_b32 s4, s4, s6
	s_sub_i32 s29, s4, s6
	s_abs_i32 s26, s24
	s_abs_i32 s28, s29
	v_cvt_f32_u32_e32 v1, s26
	v_cvt_f32_u32_e32 v2, s28
	s_waitcnt lgkmcnt(0)
	v_cmp_le_f32_e64 s[4:5], s9, 0
	s_mov_b32 s12, s8
	v_rcp_iflag_f32_e32 v1, v1
	v_rcp_iflag_f32_e32 v2, v2
	s_mov_b32 s13, s9
	s_and_b64 vcc, exec, s[4:5]
	v_mul_f32_e32 v1, 0x4f7ffffe, v1
	v_mul_f32_e32 v2, 0x4f7ffffe, v2
	v_cvt_u32_f32_e32 v1, v1
	v_cvt_u32_f32_e32 v2, v2
	v_readfirstlane_b32 s14, v1
	v_readfirstlane_b32 s15, v2
	s_cbranch_vccnz .LBB31_2
; %bb.1:
	v_mov_b32_e32 v1, s22
	v_sub_co_u32_e32 v1, vcc, s20, v1
	v_mov_b32_e32 v2, s11
	v_mov_b32_e32 v3, s10
	s_add_i32 s4, s20, 1
	v_lshlrev_b32_e32 v1, 1, v1
	v_cndmask_b32_e32 v2, v2, v3, vcc
	v_or_b32_e32 v1, 1, v1
	v_mov_b32_e32 v3, s4
	v_cndmask_b32_e32 v1, v1, v3, vcc
	v_cvt_f32_i32_e32 v1, v1
	v_cmp_neq_f32_e32 vcc, 1.0, v2
	s_mov_b32 s4, 0x3f2aaaab
	s_movk_i32 s6, 0x204
	v_cndmask_b32_e32 v1, 1.0, v1, vcc
	v_cmp_neq_f32_e32 vcc, 0, v1
	s_mov_b32 s5, 0x42b17218
	s_mov_b32 s7, 0x3fb8aa3b
	v_cndmask_b32_e32 v18, 1.0, v2, vcc
	v_frexp_mant_f32_e64 v2, |v18|
	v_cmp_gt_f32_e32 vcc, s4, v2
	s_mov_b32 s4, 0x3f317218
	s_brev_b32 s9, -2
	v_cndmask_b32_e64 v3, 1.0, 2.0, vcc
	v_mul_f32_e32 v2, v2, v3
	v_add_f32_e32 v5, 1.0, v2
	v_rcp_f32_e32 v10, v5
	v_add_f32_e32 v3, -1.0, v5
	v_sub_f32_e32 v7, v2, v3
	v_add_f32_e32 v3, -1.0, v2
	v_mul_f32_e32 v11, v3, v10
	v_mul_f32_e32 v4, v5, v11
	v_fma_f32 v6, v11, v5, -v4
	v_fmac_f32_e32 v6, v11, v7
	v_add_f32_e32 v2, v4, v6
	v_sub_f32_e32 v5, v3, v2
	v_pk_add_f32 v[8:9], v[2:3], v[4:5] neg_lo:[0,1] neg_hi:[0,1]
	v_mov_b32_e32 v7, v2
	v_pk_add_f32 v[2:3], v[8:9], v[6:7] neg_lo:[0,1] neg_hi:[0,1]
	v_mov_b32_e32 v6, 0x3e91f4c4
	v_add_f32_e32 v2, v2, v3
	v_add_f32_e32 v2, v5, v2
	v_mul_f32_e32 v3, v10, v2
	v_add_f32_e32 v2, v11, v3
	v_sub_f32_e32 v4, v2, v11
	v_sub_f32_e32 v12, v3, v4
	v_mul_f32_e32 v3, v2, v2
	v_fma_f32 v5, v2, v2, -v3
	v_add_f32_e32 v4, v12, v12
	v_fmac_f32_e32 v5, v2, v4
	v_add_f32_e32 v4, v3, v5
	v_fmac_f32_e32 v6, 0x3e76c4e1, v4
	v_fmaak_f32 v6, v4, v6, 0x3ecccdef
	v_sub_f32_e32 v3, v4, v3
	v_sub_f32_e32 v13, v5, v3
	v_mul_f32_e32 v3, v4, v6
	v_fma_f32 v5, v4, v6, -v3
	v_fmac_f32_e32 v5, v13, v6
	v_add_f32_e32 v6, v3, v5
	v_add_f32_e32 v7, 0x3f2aaaaa, v6
	v_sub_f32_e32 v3, v6, v3
	v_sub_f32_e32 v3, v5, v3
	v_add_f32_e32 v5, 0xbf2aaaaa, v7
	v_add_f32_e32 v3, 0x31739010, v3
	v_sub_f32_e32 v5, v6, v5
	v_pk_mul_f32 v[8:9], v[2:3], v[4:5]
	v_pk_add_f32 v[10:11], v[2:3], v[4:5]
	v_fma_f32 v6, v4, v2, -v8
	v_fmac_f32_e32 v6, v4, v12
	v_mov_b32_e32 v9, v11
	v_fmac_f32_e32 v6, v13, v2
	v_pk_add_f32 v[4:5], v[8:9], v[6:7]
	v_ldexp_f32 v14, v12, 1
	v_sub_f32_e32 v3, v4, v8
	v_sub_f32_e32 v3, v6, v3
	;; [unrolled: 1-line block ×3, first 2 shown]
	v_add_f32_e32 v9, v11, v6
	v_pk_mul_f32 v[6:7], v[4:5], v[4:5] op_sel:[0,1] op_sel_hi:[1,0]
	v_cvt_f64_f32_e64 v[10:11], |v18|
	v_frexp_exp_i32_f64_e32 v7, v[10:11]
	v_subbrev_co_u32_e32 v7, vcc, 0, v7, vcc
	v_cvt_f32_i32_e32 v7, v7
	v_fma_f32 v8, v4, v5, -v6
	v_fmac_f32_e32 v8, v4, v9
	v_fmac_f32_e32 v8, v3, v5
	v_mul_f32_e32 v4, 0x3f317218, v7
	v_fma_f32 v3, v7, s4, -v4
	v_fmamk_f32 v10, v7, 0xb102e308, v3
	v_ldexp_f32 v11, v2, 1
	v_add_f32_e32 v5, v6, v8
	v_pk_add_f32 v[2:3], v[4:5], v[10:11]
	v_mov_b32_e32 v12, v5
	v_mov_b32_e32 v13, v3
	;; [unrolled: 1-line block ×3, first 2 shown]
	v_pk_add_f32 v[6:7], v[12:13], v[6:7] neg_lo:[0,1] neg_hi:[0,1]
	v_mov_b32_e32 v9, v5
	v_pk_add_f32 v[6:7], v[8:9], v[6:7] neg_lo:[0,1] neg_hi:[0,1]
	v_mov_b32_e32 v11, v2
	v_add_f32_e32 v5, v14, v6
	v_add_f32_e32 v5, v5, v7
	v_pk_add_f32 v[6:7], v[2:3], v[4:5] neg_lo:[0,1] neg_hi:[0,1]
	v_pk_add_f32 v[8:9], v[2:3], v[4:5]
	v_mov_b32_e32 v16, v3
	v_mov_b32_e32 v7, v9
	v_pk_add_f32 v[12:13], v[10:11], v[6:7] neg_lo:[0,1] neg_hi:[0,1]
	v_pk_add_f32 v[6:7], v[10:11], v[6:7]
	v_mov_b32_e32 v4, v5
	v_pk_add_f32 v[10:11], v[6:7], v[2:3] op_sel:[1,0] op_sel_hi:[0,1] neg_lo:[0,1] neg_hi:[0,1]
	v_pk_add_f32 v[14:15], v[8:9], v[10:11] op_sel_hi:[1,0] neg_lo:[0,1] neg_hi:[0,1]
	v_mov_b32_e32 v8, v9
	v_mov_b32_e32 v9, v7
	v_mov_b32_e32 v17, v10
	v_pk_add_f32 v[8:9], v[8:9], v[16:17] neg_lo:[0,1] neg_hi:[0,1]
	v_mov_b32_e32 v5, v2
	v_pk_add_f32 v[2:3], v[4:5], v[8:9] neg_lo:[0,1] neg_hi:[0,1]
	v_mov_b32_e32 v14, v12
	v_pk_add_f32 v[4:5], v[14:15], v[2:3]
	v_mov_b32_e32 v13, v7
	v_pk_add_f32 v[8:9], v[4:5], v[4:5] op_sel:[0,1] op_sel_hi:[1,0]
	s_mov_b32 s4, 0x7f800000
	v_pk_add_f32 v[6:7], v[6:7], v[8:9] op_sel:[1,0] op_sel_hi:[0,1]
	v_mov_b32_e32 v5, v6
	v_pk_add_f32 v[10:11], v[4:5], v[12:13] neg_lo:[0,1] neg_hi:[0,1]
	v_mov_b32_e32 v3, v8
	v_sub_f32_e32 v4, v4, v10
	v_pk_add_f32 v[2:3], v[2:3], v[10:11] neg_lo:[0,1] neg_hi:[0,1]
	v_sub_f32_e32 v4, v12, v4
	v_add_f32_e32 v2, v2, v4
	v_add_f32_e32 v2, v2, v3
	;; [unrolled: 1-line block ×3, first 2 shown]
	v_sub_f32_e32 v4, v3, v6
	v_sub_f32_e32 v2, v2, v4
	v_mul_f32_e32 v4, v1, v3
	v_fma_f32 v3, v1, v3, -v4
	v_fmac_f32_e32 v3, v1, v2
	v_add_f32_e32 v2, v4, v3
	v_cmp_class_f32_e64 vcc, v4, s6
	v_sub_f32_e32 v5, v2, v4
	v_sub_f32_e32 v3, v3, v5
	v_cndmask_b32_e32 v2, v2, v4, vcc
	v_mov_b32_e32 v4, 0x37000000
	v_cmp_eq_f32_e32 vcc, s5, v2
	v_cmp_class_f32_e64 s[10:11], v18, s6
	s_nop 0
	v_cndmask_b32_e32 v4, 0, v4, vcc
	v_sub_f32_e32 v5, v2, v4
	v_mul_f32_e32 v6, 0x3fb8aa3b, v5
	v_fma_f32 v7, v5, s7, -v6
	v_rndne_f32_e32 v8, v6
	v_fmamk_f32 v7, v5, 0x32a5705f, v7
	v_sub_f32_e32 v6, v6, v8
	v_add_f32_e32 v6, v6, v7
	v_exp_f32_e32 v6, v6
	v_cvt_i32_f32_e32 v7, v8
	v_cmp_neq_f32_e64 vcc, |v2|, s4
	s_mov_b32 s4, 0xc2ce8ed0
	s_nop 0
	v_cndmask_b32_e32 v2, 0, v3, vcc
	v_ldexp_f32 v3, v6, v7
	v_cmp_ngt_f32_e32 vcc, s4, v5
	v_add_f32_e32 v2, v4, v2
	v_mov_b32_e32 v4, 0x7f800000
	v_cndmask_b32_e32 v3, 0, v3, vcc
	v_cmp_nlt_f32_e32 vcc, s5, v5
	v_mov_b32_e32 v5, 0x7fc00000
	s_nop 0
	v_cndmask_b32_e32 v3, v4, v3, vcc
	v_fma_f32 v2, v3, v2, v3
	v_cmp_class_f32_e64 vcc, v3, s6
	v_cmp_gt_f32_e64 s[6:7], 0, v1
	s_nop 0
	v_cndmask_b32_e32 v2, v2, v3, vcc
	v_trunc_f32_e32 v3, v1
	v_cmp_eq_f32_e32 vcc, v3, v1
	v_mul_f32_e32 v3, 0.5, v1
	v_trunc_f32_e32 v6, v3
	v_cmp_neq_f32_e64 s[4:5], v6, v3
	s_and_b64 s[4:5], vcc, s[4:5]
	s_nop 0
	v_cndmask_b32_e64 v3, 1.0, v18, s[4:5]
	v_bfi_b32 v2, s9, v2, v3
	v_cndmask_b32_e32 v3, v5, v2, vcc
	v_cmp_gt_f32_e32 vcc, 0, v18
	s_nop 1
	v_cndmask_b32_e32 v2, v2, v3, vcc
	v_cmp_eq_f32_e32 vcc, 0, v18
	s_xor_b64 s[6:7], s[6:7], vcc
	v_cndmask_b32_e64 v1, v4, 0, s[6:7]
	v_cndmask_b32_e64 v3, 0, v18, s[4:5]
	v_bfi_b32 v1, s9, v1, v3
	s_or_b64 vcc, vcc, s[10:11]
	v_cndmask_b32_e32 v1, v2, v1, vcc
	v_cmp_o_f32_e32 vcc, v18, v18
	s_nop 1
	v_cndmask_b32_e32 v127, v5, v1, vcc
.LBB31_2:
	s_load_dwordx16 s[36:51], s[0:1], 0x0
	s_mov_b32 s4, 0
	s_mov_b32 s5, s4
	v_bfe_u32 v125, v0, 10, 10
	v_and_b32_e32 v122, 0x3ff, v0
	v_mov_b32_e32 v28, 0
	s_mov_b32 s6, s4
	s_mov_b32 s7, s4
	v_mov_b64_e32 v[0:1], s[4:5]
	s_lshl_b32 s22, s2, 1
	v_mov_b64_e32 v[2:3], s[6:7]
	v_mov_b32_e32 v29, v28
	v_mov_b32_e32 v30, v28
	v_cmp_lt_u32_e64 s[16:17], 1, v125
	v_cmp_gt_u32_e32 vcc, 2, v125
	v_lshlrev_b32_e32 v126, 2, v122
	scratch_store_dword off, v28, off
	scratch_store_dwordx4 off, v[0:3], off offset:4
	scratch_store_dwordx4 off, v[0:3], off offset:20
	;; [unrolled: 1-line block ×7, first 2 shown]
	scratch_store_dwordx3 off, v[28:30], off offset:116
	s_and_saveexec_b64 s[6:7], vcc
	s_cbranch_execz .LBB31_17
; %bb.3:
	v_lshlrev_b32_e32 v1, 9, v125
	v_or_b32_e32 v0, s22, v125
	v_cmp_le_i32_e32 vcc, s18, v0
	v_lshl_add_u32 v0, v122, 3, v1
	v_sub_u32_e32 v2, 0, v126
	v_add_u32_e32 v6, v1, v122
	v_add_u32_e32 v7, v0, v2
	s_and_saveexec_b64 s[4:5], vcc
	s_xor_b64 s[4:5], exec, s[4:5]
	s_cbranch_execz .LBB31_7
; %bb.4:
	v_cmp_gt_u32_e32 vcc, 8, v122
	v_mov_b32_e32 v2, 0
	v_mad_u32_u24 v1, v122, 3, v6
	ds_write_b32 v7, v2
	ds_write_b32 v1, v2 offset:128
	s_and_saveexec_b64 s[10:11], vcc
; %bb.5:
	v_mov_b32_e32 v3, v2
	ds_write_b64 v0, v[2:3] offset:256
; %bb.6:
	s_or_b64 exec, exec, s[10:11]
                                        ; implicit-def: $vgpr7
                                        ; implicit-def: $vgpr6
.LBB31_7:
	s_andn2_saveexec_b64 s[4:5], s[4:5]
	s_cbranch_execz .LBB31_17
; %bb.8:
	s_load_dwordx4 s[56:59], s[0:1], 0x70
	v_lshlrev_b32_e32 v4, 2, v126
	v_mov_b32_e32 v5, 0
	v_mbcnt_lo_u32_b32 v2, -1, 0
	s_mov_b32 s10, 0x42fe0000
	s_waitcnt lgkmcnt(0)
	s_mul_i32 s4, s33, s58
	s_mul_i32 s9, s56, s22
	;; [unrolled: 1-line block ×3, first 2 shown]
	s_add_i32 s4, s4, s9
	s_add_i32 s4, s4, s5
	s_ashr_i32 s5, s4, 31
	v_mul_lo_u32 v0, s56, v125
	s_add_u32 s4, s36, s4
	v_ashrrev_i32_e32 v1, 31, v0
	s_addc_u32 s5, s37, s5
	v_lshl_add_u64 v[0:1], s[4:5], 0, v[0:1]
	v_lshl_add_u64 v[0:1], v[0:1], 0, v[4:5]
	global_load_dwordx4 v[16:19], v[0:1], off
	v_mbcnt_hi_u32_b32 v4, -1, v2
	v_and_b32_e32 v2, 0x60, v4
	v_xor_b32_e32 v3, 4, v4
	v_add_u32_e32 v11, 32, v2
	v_xor_b32_e32 v8, 2, v4
	v_cmp_lt_i32_e32 vcc, v3, v11
	v_xor_b32_e32 v10, 1, v4
	s_mov_b32 s9, s8
	v_cndmask_b32_e32 v2, v4, v3, vcc
	v_cmp_lt_i32_e32 vcc, v8, v11
	v_lshlrev_b32_e32 v9, 2, v2
	s_waitcnt vmcnt(0)
	v_mov_b32_e32 v2, v19
	v_cndmask_b32_e32 v3, v4, v8, vcc
	v_lshlrev_b32_e32 v8, 2, v3
	v_mov_b32_e32 v3, v17
	v_mul_f32_e32 v14, s8, v16
	v_pk_mul_f32 v[2:3], s[12:13], v[2:3] op_sel_hi:[0,1]
	v_mul_f32_e32 v13, s8, v18
	v_max_f32_e64 v12, |v14|, |v3|
	v_max3_f32 v12, v12, |v13|, |v2|
	ds_bpermute_b32 v15, v9, v12
	v_fma_f32 v16, s8, v16, v3
	v_fmac_f32_e32 v16, s8, v18
	v_add_f32_e32 v16, v16, v2
	ds_bpermute_b32 v17, v9, v16
	s_waitcnt lgkmcnt(1)
	v_max_f32_e32 v15, v15, v15
	v_max_f32_e32 v12, v12, v15
	ds_bpermute_b32 v15, v8, v12
	v_cmp_lt_i32_e32 vcc, v10, v11
	s_waitcnt lgkmcnt(0)
	v_max_f32_e32 v15, v15, v15
	v_cndmask_b32_e32 v4, v4, v10, vcc
	v_lshlrev_b32_e32 v10, 2, v4
	v_add_f32_e32 v4, v16, v17
	v_max_f32_e32 v12, v12, v15
	ds_bpermute_b32 v11, v8, v4
	ds_bpermute_b32 v15, v10, v12
	s_waitcnt lgkmcnt(1)
	v_add_f32_e32 v11, v4, v11
	s_waitcnt lgkmcnt(0)
	v_max_f32_e32 v4, v15, v15
	v_max_f32_e32 v4, v12, v4
	v_div_scale_f32 v15, s[4:5], s10, s10, v4
	v_rcp_f32_e32 v16, v15
	v_div_scale_f32 v17, vcc, v4, s10, v4
	ds_bpermute_b32 v12, v10, v11
	v_fma_f32 v18, -v15, v16, 1.0
	v_fmac_f32_e32 v16, v18, v16
	v_mul_f32_e32 v18, v17, v16
	v_fma_f32 v19, -v15, v18, v17
	v_fmac_f32_e32 v18, v19, v16
	v_fma_f32 v15, -v15, v18, v17
	v_div_fmas_f32 v15, v15, v16, v18
	v_div_fixup_f32 v4, v15, s10, v4
	v_cmp_neq_f32_e32 vcc, 0, v4
	s_and_saveexec_b64 s[4:5], vcc
	s_cbranch_execz .LBB31_10
; %bb.9:
	v_div_scale_f32 v5, s[10:11], v4, v4, v14
	v_rcp_f32_e32 v15, v5
	v_div_scale_f32 v16, vcc, v14, v4, v14
	s_brev_b32 s12, -2
	v_fma_f32 v17, -v5, v15, 1.0
	v_fmac_f32_e32 v15, v17, v15
	v_mul_f32_e32 v17, v16, v15
	v_fma_f32 v18, -v5, v17, v16
	v_fmac_f32_e32 v17, v18, v15
	v_fma_f32 v5, -v5, v17, v16
	v_div_fmas_f32 v5, v5, v15, v17
	v_div_fixup_f32 v5, v5, v4, v14
	v_trunc_f32_e32 v14, v5
	v_sub_f32_e32 v15, v5, v14
	v_cmp_ge_f32_e64 s[10:11], |v15|, 0.5
	s_nop 1
	v_cndmask_b32_e64 v15, 0, 1.0, s[10:11]
	v_div_scale_f32 v16, s[10:11], v4, v4, v2
	v_rcp_f32_e32 v17, v16
	v_bfi_b32 v5, s12, v15, v5
	v_add_f32_e32 v5, v14, v5
	v_cvt_i32_f32_e32 v5, v5
	v_fma_f32 v14, -v16, v17, 1.0
	v_fmac_f32_e32 v17, v14, v17
	v_div_scale_f32 v14, vcc, v2, v4, v2
	v_mul_f32_e32 v15, v14, v17
	v_fma_f32 v18, -v16, v15, v14
	v_fmac_f32_e32 v15, v18, v17
	v_div_scale_f32 v18, s[10:11], v4, v4, v3
	v_rcp_f32_e32 v19, v18
	v_fma_f32 v14, -v16, v15, v14
	v_div_fmas_f32 v14, v14, v17, v15
	v_div_fixup_f32 v2, v14, v4, v2
	v_fma_f32 v15, -v18, v19, 1.0
	v_fmac_f32_e32 v19, v15, v19
	v_div_scale_f32 v15, vcc, v3, v4, v3
	v_mul_f32_e32 v16, v15, v19
	v_fma_f32 v17, -v18, v16, v15
	v_fmac_f32_e32 v16, v17, v19
	v_div_scale_f32 v17, s[10:11], v4, v4, v13
	v_rcp_f32_e32 v20, v17
	v_fma_f32 v15, -v18, v16, v15
	v_div_fmas_f32 v15, v15, v19, v16
	v_div_fixup_f32 v3, v15, v4, v3
	v_fma_f32 v16, -v17, v20, 1.0
	v_fmac_f32_e32 v20, v16, v20
	v_div_scale_f32 v16, vcc, v13, v4, v13
	v_mul_f32_e32 v18, v16, v20
	v_fma_f32 v19, -v17, v18, v16
	v_fmac_f32_e32 v18, v19, v20
	v_fma_f32 v16, -v17, v18, v16
	v_div_fmas_f32 v16, v16, v20, v18
	v_div_fixup_f32 v13, v16, v4, v13
	v_trunc_f32_e32 v16, v13
	v_sub_f32_e32 v17, v13, v16
	v_trunc_f32_e32 v14, v3
	v_cmp_ge_f32_e64 s[10:11], |v17|, 0.5
	v_sub_f32_e32 v15, v3, v14
	v_and_b32_e32 v5, 0xff, v5
	v_cndmask_b32_e64 v17, 0, 1.0, s[10:11]
	v_cmp_ge_f32_e64 s[10:11], |v15|, 0.5
	v_bfi_b32 v13, s12, v17, v13
	v_add_f32_e32 v13, v16, v13
	v_cndmask_b32_e64 v15, 0, 1.0, s[10:11]
	v_bfi_b32 v3, s12, v15, v3
	v_add_f32_e32 v3, v14, v3
	v_trunc_f32_e32 v14, v2
	v_sub_f32_e32 v15, v2, v14
	v_cmp_ge_f32_e64 s[10:11], |v15|, 0.5
	v_cvt_i32_f32_e32 v13, v13
	v_cvt_i32_f32_e32 v3, v3
	v_cndmask_b32_e64 v15, 0, 1.0, s[10:11]
	v_bfi_b32 v2, s12, v15, v2
	v_add_f32_e32 v2, v14, v2
	v_cvt_i32_f32_e32 v2, v2
	v_and_b32_e32 v13, 0xff, v13
	v_lshlrev_b32_e32 v13, 16, v13
	v_mov_b32_e32 v14, 8
	v_lshlrev_b32_sdwa v3, v14, v3 dst_sel:DWORD dst_unused:UNUSED_PAD src0_sel:DWORD src1_sel:BYTE_0
	v_lshl_or_b32 v2, v2, 24, v13
	v_or3_b32 v5, v2, v3, v5
.LBB31_10:
	s_or_b64 exec, exec, s[4:5]
	v_and_b32_e32 v2, 7, v122
	v_cmp_eq_u32_e64 s[4:5], 0, v2
	ds_write_b32 v7, v5
	s_and_saveexec_b64 s[10:11], s[4:5]
	s_cbranch_execz .LBB31_12
; %bb.11:
	s_waitcnt lgkmcnt(1)
	v_add_f32_e32 v5, v11, v12
	ds_write_b64 v6, v[4:5] offset:256
.LBB31_12:
	s_or_b64 exec, exec, s[10:11]
	s_waitcnt lgkmcnt(1)
	global_load_dwordx4 v[12:15], v[0:1], off offset:512
	s_mov_b32 s10, 0x42fe0000
	s_waitcnt vmcnt(0)
	v_mov_b32_e32 v0, v15
	v_mov_b32_e32 v1, v13
	v_mul_f32_e32 v11, s8, v12
	v_pk_mul_f32 v[0:1], s[8:9], v[0:1]
	v_mul_f32_e32 v5, s8, v14
	v_max_f32_e64 v2, |v11|, |v1|
	v_max3_f32 v2, v2, |v5|, |v0|
	ds_bpermute_b32 v3, v9, v2
	v_fma_f32 v4, s8, v12, v1
	v_fmac_f32_e32 v4, s8, v14
	v_add_f32_e32 v4, v4, v0
	ds_bpermute_b32 v9, v9, v4
	s_waitcnt lgkmcnt(1)
	v_max_f32_e32 v3, v3, v3
	v_max_f32_e32 v2, v2, v3
	ds_bpermute_b32 v3, v8, v2
	s_waitcnt lgkmcnt(1)
	v_add_f32_e32 v4, v4, v9
	ds_bpermute_b32 v8, v8, v4
	s_waitcnt lgkmcnt(1)
	v_max_f32_e32 v3, v3, v3
	v_max_f32_e32 v2, v2, v3
	ds_bpermute_b32 v9, v10, v2
	s_waitcnt lgkmcnt(1)
	v_add_f32_e32 v3, v4, v8
	s_waitcnt lgkmcnt(0)
	v_max_f32_e32 v4, v9, v9
	v_max_f32_e32 v2, v2, v4
	v_div_scale_f32 v8, s[8:9], s10, s10, v2
	v_rcp_f32_e32 v9, v8
	ds_bpermute_b32 v4, v10, v3
	v_div_scale_f32 v10, vcc, v2, s10, v2
	v_fma_f32 v12, -v8, v9, 1.0
	v_fmac_f32_e32 v9, v12, v9
	v_mul_f32_e32 v12, v10, v9
	v_fma_f32 v13, -v8, v12, v10
	v_fmac_f32_e32 v12, v13, v9
	v_fma_f32 v8, -v8, v12, v10
	v_div_fmas_f32 v8, v8, v9, v12
	v_div_fixup_f32 v2, v8, s10, v2
	v_cmp_neq_f32_e32 vcc, 0, v2
	v_mov_b32_e32 v8, 0
	s_and_saveexec_b64 s[8:9], vcc
	s_cbranch_execz .LBB31_14
; %bb.13:
	v_div_scale_f32 v8, s[10:11], v2, v2, v11
	v_rcp_f32_e32 v9, v8
	v_div_scale_f32 v10, vcc, v11, v2, v11
	s_brev_b32 s12, -2
	v_fma_f32 v12, -v8, v9, 1.0
	v_fmac_f32_e32 v9, v12, v9
	v_mul_f32_e32 v12, v10, v9
	v_fma_f32 v13, -v8, v12, v10
	v_fmac_f32_e32 v12, v13, v9
	v_fma_f32 v8, -v8, v12, v10
	v_div_fmas_f32 v8, v8, v9, v12
	v_div_fixup_f32 v8, v8, v2, v11
	v_trunc_f32_e32 v9, v8
	v_sub_f32_e32 v10, v8, v9
	v_cmp_ge_f32_e64 s[10:11], |v10|, 0.5
	s_nop 1
	v_cndmask_b32_e64 v10, 0, 1.0, s[10:11]
	v_div_scale_f32 v11, s[10:11], v2, v2, v0
	v_rcp_f32_e32 v12, v11
	v_bfi_b32 v8, s12, v10, v8
	v_add_f32_e32 v8, v9, v8
	v_cvt_i32_f32_e32 v8, v8
	v_fma_f32 v9, -v11, v12, 1.0
	v_fmac_f32_e32 v12, v9, v12
	v_div_scale_f32 v9, vcc, v0, v2, v0
	v_mul_f32_e32 v10, v9, v12
	v_fma_f32 v13, -v11, v10, v9
	v_fmac_f32_e32 v10, v13, v12
	v_div_scale_f32 v13, s[10:11], v2, v2, v1
	v_rcp_f32_e32 v14, v13
	v_fma_f32 v9, -v11, v10, v9
	v_div_fmas_f32 v9, v9, v12, v10
	v_div_fixup_f32 v0, v9, v2, v0
	v_fma_f32 v10, -v13, v14, 1.0
	v_fmac_f32_e32 v14, v10, v14
	v_div_scale_f32 v10, vcc, v1, v2, v1
	v_mul_f32_e32 v11, v10, v14
	v_fma_f32 v12, -v13, v11, v10
	v_fmac_f32_e32 v11, v12, v14
	v_div_scale_f32 v12, s[10:11], v2, v2, v5
	v_rcp_f32_e32 v15, v12
	v_fma_f32 v10, -v13, v11, v10
	v_div_fmas_f32 v10, v10, v14, v11
	v_div_fixup_f32 v1, v10, v2, v1
	v_fma_f32 v11, -v12, v15, 1.0
	v_fmac_f32_e32 v15, v11, v15
	v_div_scale_f32 v11, vcc, v5, v2, v5
	v_mul_f32_e32 v13, v11, v15
	v_fma_f32 v14, -v12, v13, v11
	v_fmac_f32_e32 v13, v14, v15
	v_fma_f32 v11, -v12, v13, v11
	v_div_fmas_f32 v11, v11, v15, v13
	v_div_fixup_f32 v5, v11, v2, v5
	v_trunc_f32_e32 v11, v5
	v_sub_f32_e32 v12, v5, v11
	v_trunc_f32_e32 v9, v1
	v_cmp_ge_f32_e64 s[10:11], |v12|, 0.5
	v_sub_f32_e32 v10, v1, v9
	s_nop 0
	v_cndmask_b32_e64 v12, 0, 1.0, s[10:11]
	v_cmp_ge_f32_e64 s[10:11], |v10|, 0.5
	v_bfi_b32 v5, s12, v12, v5
	v_add_f32_e32 v5, v11, v5
	v_cndmask_b32_e64 v10, 0, 1.0, s[10:11]
	v_bfi_b32 v1, s12, v10, v1
	v_add_f32_e32 v1, v9, v1
	v_trunc_f32_e32 v9, v0
	v_sub_f32_e32 v10, v0, v9
	v_cmp_ge_f32_e64 s[10:11], |v10|, 0.5
	v_cvt_i32_f32_e32 v5, v5
	v_cvt_i32_f32_e32 v1, v1
	v_cndmask_b32_e64 v10, 0, 1.0, s[10:11]
	v_bfi_b32 v0, s12, v10, v0
	v_add_f32_e32 v0, v9, v0
	v_cvt_i32_f32_e32 v0, v0
	v_and_b32_e32 v5, 0xff, v5
	v_lshlrev_b32_e32 v5, 16, v5
	v_mov_b32_e32 v9, 8
	v_lshlrev_b32_sdwa v1, v9, v1 dst_sel:DWORD dst_unused:UNUSED_PAD src0_sel:DWORD src1_sel:BYTE_0
	v_lshl_or_b32 v0, v0, 24, v5
	v_and_b32_e32 v5, 0xff, v8
	v_or3_b32 v8, v0, v1, v5
.LBB31_14:
	s_or_b64 exec, exec, s[8:9]
	ds_write_b32 v7, v8 offset:128
	s_and_saveexec_b64 s[8:9], s[4:5]
	s_cbranch_execz .LBB31_16
; %bb.15:
	s_waitcnt lgkmcnt(1)
	v_add_f32_e32 v3, v3, v4
	ds_write_b64 v6, v[2:3] offset:288
.LBB31_16:
	s_or_b64 exec, exec, s[8:9]
.LBB31_17:
	s_or_b64 exec, exec, s[6:7]
	v_and_b32_e32 v32, 3, v122
	v_lshlrev_b32_e32 v33, 2, v32
	s_waitcnt lgkmcnt(0)
	s_barrier
	ds_read2_b32 v[50:51], v33 offset1:4
	ds_read2_b32 v[52:53], v33 offset0:8 offset1:12
	ds_read_b128 v[0:3], v28 offset:256
	ds_read_b128 v[4:7], v28 offset:272
	;; [unrolled: 1-line block ×4, first 2 shown]
	ds_read2_b32 v[54:55], v33 offset0:16 offset1:20
	ds_read2_b32 v[56:57], v33 offset0:24 offset1:28
	;; [unrolled: 1-line block ×9, first 2 shown]
	ds_read_b128 v[16:19], v28 offset:768
	ds_read_b128 v[20:23], v28 offset:784
	ds_read2_b32 v[72:73], v33 offset0:152 offset1:156
	ds_read2_b32 v[74:75], v33 offset0:160 offset1:164
	ds_read_b128 v[24:27], v28 offset:800
	ds_read_b128 v[28:31], v28 offset:816
	ds_read2_b32 v[76:77], v33 offset0:168 offset1:172
	ds_read2_b32 v[78:79], v33 offset0:176 offset1:180
	ds_read2_b32 v[80:81], v33 offset0:184 offset1:188
	s_cmp_eq_u64 s[46:47], 0
	s_mov_b32 s21, s52
	s_waitcnt lgkmcnt(0)
	s_barrier
	s_cbranch_scc1 .LBB31_19
; %bb.18:
	s_load_dword s4, s[0:1], 0xd0
	s_mov_b32 s5, 0
	s_waitcnt lgkmcnt(0)
	s_mul_i32 s4, s4, s33
	s_add_i32 s4, s4, s2
	s_lshl_b64 s[4:5], s[4:5], 2
	s_add_u32 s4, s46, s4
	s_addc_u32 s5, s47, s5
	s_load_dword s21, s[4:5], 0x0
.LBB31_19:
	v_lshlrev_b32_e32 v33, 5, v125
	v_add_u32_e32 v123, v33, v122
	s_lshl_b32 s24, s3, 7
	s_mov_b32 s27, 0
	s_waitcnt lgkmcnt(0)
	s_cmp_ge_i32 s24, s21
	v_mbcnt_lo_u32_b32 v128, -1, 0
	v_lshlrev_b32_e32 v124, 1, v123
	s_cbranch_scc1 .LBB31_71
; %bb.20:
	s_sub_i32 s2, 0, s28
	s_sub_i32 s4, 0, s26
	s_mul_i32 s2, s2, s15
	s_mul_i32 s4, s4, s14
	s_mul_hi_u32 s2, s15, s2
	s_mul_hi_u32 s4, s14, s4
	s_abs_i32 s6, s20
	s_add_i32 s15, s15, s2
	s_abs_i32 s2, s33
	s_add_i32 s14, s14, s4
	s_mul_hi_u32 s7, s6, s15
	s_mul_hi_u32 s8, s2, s14
	s_load_dwordx2 s[10:11], s[0:1], 0x8c
	s_load_dwordx4 s[12:15], s[0:1], 0x98
	s_ashr_i32 s30, s33, 31
	s_ashr_i32 s9, s20, 31
	;; [unrolled: 1-line block ×3, first 2 shown]
	s_xor_b32 s9, s9, s29
	s_waitcnt lgkmcnt(0)
	s_mul_hi_u32 s31, s12, s33
	s_mul_i32 s34, s12, s30
	s_add_i32 s31, s31, s34
	s_mul_i32 s13, s13, s33
	s_add_i32 s31, s31, s13
	s_mul_i32 s13, s7, s28
	s_sub_i32 s6, s6, s13
	s_add_i32 s13, s7, 1
	s_sub_i32 s29, s6, s28
	s_cmp_ge_u32 s6, s28
	s_cselect_b32 s7, s13, s7
	s_cselect_b32 s6, s29, s6
	s_add_i32 s13, s7, 1
	s_cmp_ge_u32 s6, s28
	s_cselect_b32 s6, s13, s7
	s_xor_b32 s6, s6, s9
	s_load_dwordx2 s[4:5], s[0:1], 0xa8
	s_sub_i32 s9, s6, s9
	s_mul_i32 s6, s9, s11
	s_mul_i32 s12, s12, s33
	s_ashr_i32 s7, s6, 31
	s_add_u32 s11, s38, s12
	s_addc_u32 s12, s39, s31
	s_add_u32 s11, s11, s6
	s_waitcnt lgkmcnt(0)
	s_mul_hi_u32 s28, s4, s33
	s_mul_i32 s29, s4, s30
	s_addc_u32 s12, s12, s7
	s_add_i32 s28, s28, s29
	s_mul_i32 s5, s5, s33
	s_mul_i32 s9, s9, s15
	s_add_i32 s28, s28, s5
	s_mul_i32 s4, s4, s33
	s_ashr_i32 s5, s9, 31
	s_add_u32 s4, s40, s4
	s_addc_u32 s15, s41, s28
	s_add_u32 s9, s4, s9
	s_mul_i32 s8, s8, s26
	s_addc_u32 s15, s15, s5
	s_sub_i32 s2, s2, s8
	s_sub_i32 s4, s2, s26
	s_cmp_ge_u32 s2, s26
	s_cselect_b32 s2, s4, s2
	s_sub_i32 s4, s2, s26
	s_cmp_ge_u32 s2, s26
	s_load_dwordx2 s[6:7], s[0:1], 0xc8
	s_load_dword s13, s[0:1], 0xd4
	s_cselect_b32 s2, s4, s2
	s_xor_b32 s2, s2, s30
	s_sub_i32 s2, s2, s30
	s_ashr_i32 s4, s2, 31
	s_waitcnt lgkmcnt(0)
	s_mul_i32 s4, s6, s4
	s_mul_hi_u32 s5, s6, s2
	s_add_i32 s4, s5, s4
	s_mul_i32 s5, s7, s2
	s_add_i32 s4, s4, s5
	s_mul_i32 s2, s6, s2
	s_add_u32 s2, s42, s2
	s_mul_i32 s5, s25, s22
	s_addc_u32 s4, s43, s4
	s_ashr_i32 s6, s5, 31
	s_add_u32 s2, s2, s5
	s_mov_b32 s25, s27
	s_addc_u32 s6, s4, s6
	s_lshl_b64 s[4:5], s[24:25], 1
	s_add_u32 s28, s2, s4
	s_addc_u32 s29, s6, s5
	s_mul_i32 s2, s14, s24
	s_add_u32 s30, s9, s2
	s_addc_u32 s31, s15, 0
	s_mul_i32 s2, s10, s24
	v_and_b32_e32 v34, 0x7c, v122
	s_add_u32 s34, s11, s2
	v_add_u32_e32 v82, v33, v34
	v_mbcnt_hi_u32_b32 v34, -1, v128
	s_addc_u32 s35, s12, 0
	v_and_b32_e32 v35, 0x7c, v34
	v_add_u32_e32 v35, 4, v35
	v_xor_b32_e32 v36, 2, v34
	s_cmp_lg_u64 s[42:43], 0
	v_cmp_lt_i32_e32 vcc, v36, v35
	s_cselect_b64 s[6:7], -1, 0
	s_lshl_b32 s26, s13, 7
	v_cndmask_b32_e32 v36, v34, v36, vcc
	s_cmp_lt_i32 s22, s18
	v_lshlrev_b32_e32 v129, 2, v36
	v_xor_b32_e32 v36, 1, v34
	s_cselect_b64 s[8:9], -1, 0
	v_cmp_lt_i32_e32 vcc, v36, v35
	v_mul_lo_u32 v88, v82, s10
	s_and_b64 s[36:37], s[6:7], s[8:9]
	s_or_b32 s8, s22, 1
	v_cndmask_b32_e32 v35, v34, v36, vcc
	s_cmp_lt_i32 s8, s18
	v_add_u32_e32 v92, s10, v88
	v_lshlrev_b32_e32 v130, 2, v35
	v_and_b32_e32 v35, 0x60, v34
	s_cselect_b64 s[8:9], -1, 0
	v_add_u32_e32 v94, s10, v92
	v_add_u32_e32 v35, 32, v35
	s_mul_i32 s2, s26, s10
	v_cmp_eq_u32_e64 s[4:5], 0, v32
	s_and_b64 s[38:39], s[6:7], s[8:9]
	v_cmp_eq_u32_e64 s[6:7], 1, v32
	v_cmp_eq_u32_e64 s[8:9], 2, v32
	v_add_u32_e32 v96, s10, v94
	v_cmp_eq_u32_e64 s[10:11], 3, v32
	v_xor_b32_e32 v32, 4, v34
	v_cmp_lt_i32_e32 vcc, v32, v35
	v_lshrrev_b32_e32 v37, 3, v122
	v_mov_b32_e32 v87, 0
	v_cndmask_b32_e32 v32, v34, v32, vcc
	v_lshlrev_b32_e32 v131, 2, v32
	v_xor_b32_e32 v32, 8, v34
	v_cmp_lt_i32_e32 vcc, v32, v35
	v_lshlrev_b32_e32 v36, 3, v122
	v_and_b32_e32 v36, 56, v36
	v_cndmask_b32_e32 v32, v34, v32, vcc
	v_lshlrev_b32_e32 v132, 2, v32
	v_xor_b32_e32 v32, 16, v34
	v_cmp_lt_i32_e32 vcc, v32, v35
	v_mov_b32_e32 v83, v87
	v_add_u32_e32 v90, s52, v82
	v_cndmask_b32_e32 v32, v34, v32, vcc
	v_lshlrev_b32_e32 v133, 2, v32
	v_or_b32_e32 v32, v33, v37
	v_lshlrev_b32_e32 v134, 1, v32
	v_mul_lo_u32 v98, v32, s14
	v_add_u32_e32 v33, v33, v37
	v_or_b32_e32 v32, 16, v32
	v_add_u32_e32 v34, 4, v33
	v_mul_lo_u32 v106, v32, s14
	v_add_u32_e32 v32, 20, v33
	v_mul_lo_u32 v100, v34, s14
	;; [unrolled: 2-line block ×6, first 2 shown]
	v_mul_lo_u32 v112, v32, s14
	s_ashr_i32 s53, s52, 31
	v_and_b32_e32 v84, 12, v126
	v_mov_b32_e32 v85, v87
	s_mul_i32 s25, s26, s14
	v_ashrrev_i32_e32 v89, 31, v88
	v_ashrrev_i32_e32 v91, 31, v90
	;; [unrolled: 1-line block ×6, first 2 shown]
	v_lshlrev_b32_e32 v135, 1, v33
	v_ashrrev_i32_e32 v101, 31, v100
	v_ashrrev_i32_e32 v103, 31, v102
	;; [unrolled: 1-line block ×7, first 2 shown]
	v_lshl_add_u64 v[114:115], s[52:53], 0, v[82:83]
	v_mov_b32_e32 v34, 0xfeffffff
	s_mov_b32 s42, 0x3f200000
	s_mov_b32 s43, 0x3fb8aa3b
	;; [unrolled: 1-line block ×4, first 2 shown]
	v_mov_b32_e32 v83, 0x3ca908c9
	s_brev_b32 s52, -2
	v_lshlrev_b32_e32 v86, 1, v36
	v_mov_b32_e32 v136, 0x7f800000
	v_mov_b32_e32 v48, v87
	;; [unrolled: 1-line block ×6, first 2 shown]
                                        ; implicit-def: $vgpr32
                                        ; implicit-def: $vgpr32
	;; [unrolled: 1-line block ×3, first 2 shown]
.LBB31_21:                              ; =>This Inner Loop Header: Depth=1
	v_lshl_add_u64 v[32:33], s[34:35], 0, v[88:89]
	global_load_dword v35, v[32:33], off
	global_load_dword v36, v[32:33], off offset:20
	global_load_dword v38, v[32:33], off offset:40
	;; [unrolled: 1-line block ×7, first 2 shown]
	v_lshl_add_u64 v[32:33], v[32:33], 0, v[84:85]
	global_load_dword v118, v[32:33], off offset:4
	global_load_dword v119, v[32:33], off offset:24
	;; [unrolled: 1-line block ×8, first 2 shown]
	v_mov_b32_e32 v153, 0
	v_mov_b32_e32 v154, 0
	;; [unrolled: 1-line block ×6, first 2 shown]
	s_waitcnt vmcnt(15)
	v_cvt_f32_f16_e32 v148, v35
	v_cvt_f32_f16_sdwa v147, v35 dst_sel:DWORD dst_unused:UNUSED_PAD src0_sel:WORD_1
	s_waitcnt vmcnt(7)
	v_and_b32_e32 v151, 0xf0f0f0f, v118
	v_lshrrev_b32_e32 v35, 4, v118
	v_cvt_f32_f16_e32 v46, v40
	v_cvt_f32_f16_sdwa v47, v40 dst_sel:DWORD dst_unused:UNUSED_PAD src0_sel:WORD_1
	v_dot4c_i32_i8_e32 v153, v151, v50
	v_cvt_f32_f16_sdwa v143, v36 dst_sel:DWORD dst_unused:UNUSED_PAD src0_sel:WORD_1
	v_cvt_f32_f16_e32 v140, v38
	s_waitcnt vmcnt(0)
	v_and_b32_e32 v40, 0xf0f0f0f, v152
	v_lshrrev_b32_e32 v161, 4, v152
	v_and_b32_e32 v152, 0xf0f0f0f, v35
	v_cvt_f32_f16_sdwa v139, v38 dst_sel:DWORD dst_unused:UNUSED_PAD src0_sel:WORD_1
	v_and_b32_e32 v149, 0xf0f0f0f, v119
	v_lshrrev_b32_e32 v38, 4, v119
	v_and_b32_e32 v145, 0xf0f0f0f, v137
	v_cvt_f32_i32_e32 v35, v153
	v_dot4c_i32_i8_e32 v154, v152, v51
	v_cvt_f32_f16_e32 v144, v36
	v_cvt_f32_f16_e32 v120, v39
	v_cvt_f32_f16_sdwa v121, v39 dst_sel:DWORD dst_unused:UNUSED_PAD src0_sel:WORD_1
	v_cvt_f32_f16_e32 v36, v44
	v_cvt_f32_f16_sdwa v39, v44 dst_sel:DWORD dst_unused:UNUSED_PAD src0_sel:WORD_1
	v_and_b32_e32 v44, 0xf0f0f0f, v150
	v_lshrrev_b32_e32 v160, 4, v150
	v_and_b32_e32 v150, 0xf0f0f0f, v38
	v_dot4c_i32_i8_e32 v155, v149, v52
	v_dot4c_i32_i8_e32 v157, v145, v54
	v_cvt_f32_i32_e32 v154, v154
	v_dot4c_i32_i8_e32 v156, v150, v53
	v_cvt_f32_i32_e32 v38, v155
	v_cvt_f32_i32_e32 v153, v157
	v_mul_f32_e32 v157, v1, v147
	v_cvt_f32_f16_e32 v32, v45
	v_cvt_f32_f16_sdwa v33, v45 dst_sel:DWORD dst_unused:UNUSED_PAD src0_sel:WORD_1
	v_lshrrev_b32_e32 v45, 4, v138
	v_mul_f32_e32 v155, v0, v148
	v_cvt_f32_i32_e32 v156, v156
	v_mul_f32_e32 v157, 0x3e000000, v157
	v_cvt_f32_f16_e32 v42, v41
	v_cvt_f32_f16_sdwa v43, v41 dst_sel:DWORD dst_unused:UNUSED_PAD src0_sel:WORD_1
	v_lshrrev_b32_e32 v41, 4, v137
	v_and_b32_e32 v137, 0xf0f0f0f, v142
	v_lshrrev_b32_e32 v119, 4, v142
	v_lshrrev_b32_e32 v159, 4, v146
	v_and_b32_e32 v142, 0xf0f0f0f, v45
	v_and_b32_e32 v45, 0xf0f0f0f, v160
	v_mul_f32_e32 v160, v3, v143
	v_fma_f32 v35, v155, v35, v157
	v_and_b32_e32 v141, 0xf0f0f0f, v138
	v_and_b32_e32 v138, 0xf0f0f0f, v119
	;; [unrolled: 1-line block ×3, first 2 shown]
	v_mul_f32_e32 v159, v2, v144
	v_mul_f32_e32 v160, 0x3e000000, v160
	v_add_f32_e32 v35, 0, v35
	v_fmac_f32_e32 v157, v155, v154
	v_mul_f32_e32 v162, v5, v139
	v_fma_f32 v38, v159, v38, v160
	v_add_f32_e32 v35, v35, v157
	v_and_b32_e32 v118, 0xf0f0f0f, v146
	v_and_b32_e32 v146, 0xf0f0f0f, v41
	;; [unrolled: 1-line block ×3, first 2 shown]
	v_mul_f32_e32 v161, v4, v140
	v_mul_f32_e32 v162, 0x3e000000, v162
	v_fmac_f32_e32 v160, v159, v156
	v_add_f32_e32 v35, v35, v38
	v_add_f32_e32 v35, v35, v160
	v_fma_f32 v38, v161, v153, v162
	v_dot4c_i32_i8_e32 v158, v146, v55
	v_add_f32_e32 v35, v35, v38
	v_mov_b32_e32 v38, 0
	v_mov_b32_e32 v153, 0
	v_cvt_f32_i32_e32 v158, v158
	v_dot4c_i32_i8_e32 v38, v141, v56
	v_dot4c_i32_i8_e32 v153, v142, v57
	v_fmac_f32_e32 v162, v161, v158
	s_nop 0
	v_cvt_f32_i32_e32 v154, v38
	v_cvt_f32_i32_e32 v155, v153
	v_mul_f32_e32 v153, v7, v121
	v_mul_f32_e32 v38, v6, v120
	;; [unrolled: 1-line block ×3, first 2 shown]
	v_add_f32_e32 v35, v35, v162
	v_pk_fma_f32 v[154:155], v[38:39], v[154:155], v[156:157] op_sel_hi:[0,1,0]
	v_mov_b32_e32 v38, 0
	v_mov_b32_e32 v153, 0
	v_add_f32_e32 v35, v35, v154
	v_dot4c_i32_i8_e32 v38, v137, v58
	v_dot4c_i32_i8_e32 v153, v138, v59
	v_add_f32_e32 v35, v35, v155
	s_nop 0
	v_cvt_f32_i32_e32 v154, v38
	v_cvt_f32_i32_e32 v155, v153
	v_mul_f32_e32 v153, v9, v47
	v_mul_f32_e32 v38, v8, v46
	v_mul_f32_e32 v156, 0x3e000000, v153
	v_pk_fma_f32 v[154:155], v[38:39], v[154:155], v[156:157] op_sel_hi:[0,1,0]
	v_mov_b32_e32 v38, 0
	v_mov_b32_e32 v153, 0
	v_add_f32_e32 v35, v35, v154
	v_dot4c_i32_i8_e32 v38, v118, v60
	v_dot4c_i32_i8_e32 v153, v119, v61
	v_add_f32_e32 v35, v35, v155
	s_nop 0
	v_cvt_f32_i32_e32 v154, v38
	v_cvt_f32_i32_e32 v155, v153
	v_mul_f32_e32 v153, v11, v43
	v_mul_f32_e32 v38, v10, v42
	v_mul_f32_e32 v156, 0x3e000000, v153
	;; [unrolled: 13-line block ×4, first 2 shown]
	v_pk_fma_f32 v[154:155], v[38:39], v[154:155], v[156:157] op_sel_hi:[0,1,0]
	v_add_f32_e32 v35, v35, v154
	v_add_f32_e32 v35, v35, v155
	ds_bpermute_b32 v38, v129, v35
	s_waitcnt lgkmcnt(0)
	v_add_f32_e32 v35, v35, v38
	ds_bpermute_b32 v38, v130, v35
	s_waitcnt lgkmcnt(0)
	v_add_f32_e32 v35, v35, v38
	v_cmp_nlt_f32_e64 s[12:13], |v35|, s42
                                        ; implicit-def: $vgpr38
	s_and_saveexec_b64 s[14:15], s[12:13]
	s_xor_b64 s[12:13], exec, s[14:15]
	s_cbranch_execz .LBB31_23
; %bb.22:                               ;   in Loop: Header=BB31_21 Depth=1
	v_add_f32_e64 v38, |v35|, |v35|
	v_mul_f32_e32 v153, 0x3fb8aa3b, v38
	v_rndne_f32_e32 v154, v153
	v_sub_f32_e32 v155, v153, v154
	v_fma_f32 v153, v38, s43, -v153
	v_fmac_f32_e32 v153, 0x32a5705f, v38
	v_add_f32_e32 v153, v155, v153
	v_cvt_i32_f32_e32 v154, v154
	v_exp_f32_e32 v153, v153
	v_cmp_ngt_f32_e32 vcc, s46, v38
	v_ldexp_f32 v153, v153, v154
	s_nop 0
	v_cndmask_b32_e32 v153, 0, v153, vcc
	v_cmp_nlt_f32_e32 vcc, s47, v38
	s_nop 1
	v_cndmask_b32_e32 v38, v136, v153, vcc
	v_add_f32_e32 v38, 1.0, v38
	v_rcp_f32_e32 v38, v38
	s_nop 0
	v_fma_f32 v38, v38, -2.0, 1.0
.LBB31_23:                              ;   in Loop: Header=BB31_21 Depth=1
	s_andn2_saveexec_b64 s[12:13], s[12:13]
; %bb.24:                               ;   in Loop: Header=BB31_21 Depth=1
	v_mul_f32_e32 v38, v35, v35
	v_fmamk_f32 v153, v38, 0xbbbac73d, v83
	v_fmaak_f32 v153, v38, v153, 0xbd5c1c4e
	v_fmaak_f32 v153, v38, v153, 0x3e088382
	;; [unrolled: 1-line block ×3, first 2 shown]
	v_mul_f32_e64 v153, |v35|, v153
	v_fma_f32 v38, v38, v153, |v35|
; %bb.25:                               ;   in Loop: Header=BB31_21 Depth=1
	s_or_b64 exec, exec, s[12:13]
	v_bfi_b32 v35, s52, v38, v35
	v_cndmask_b32_e64 v38, 0, 1, s[36:37]
	v_mul_f32_e32 v35, s23, v35
	v_cmp_ne_u32_e64 s[12:13], 1, v38
	s_andn2_b64 vcc, exec, s[36:37]
	v_lshlrev_b32_e32 v38, 1, v82
	s_cbranch_vccnz .LBB31_27
; %bb.26:                               ;   in Loop: Header=BB31_21 Depth=1
	global_load_ushort v153, v38, s[28:29]
	s_waitcnt vmcnt(0)
	v_fma_mix_f32 v35, v127, v153, v35 op_sel_hi:[0,1,0]
.LBB31_27:                              ;   in Loop: Header=BB31_21 Depth=1
	v_mov_b32_e32 v153, 0
	v_dot4c_i32_i8_e32 v153, v151, v66
	v_mul_f32_e32 v147, v17, v147
	v_mul_f32_e32 v148, v16, v148
	;; [unrolled: 1-line block ×3, first 2 shown]
	v_cvt_f32_i32_e32 v151, v153
	v_mov_b32_e32 v153, 0
	v_dot4c_i32_i8_e32 v153, v152, v67
	v_mul_f32_e32 v143, v19, v143
	v_fma_f32 v151, v148, v151, v147
	v_mul_f32_e32 v144, v18, v144
	v_cvt_f32_i32_e32 v152, v153
	v_mul_f32_e32 v143, 0x3e000000, v143
	v_mul_f32_e32 v139, v21, v139
	;; [unrolled: 1-line block ×3, first 2 shown]
	v_fmac_f32_e32 v147, v148, v152
	v_mov_b32_e32 v148, 0
	v_dot4c_i32_i8_e32 v148, v149, v68
	v_mov_b32_e32 v149, 0
	v_dot4c_i32_i8_e32 v149, v150, v69
	v_mul_f32_e32 v139, 0x3e000000, v139
	v_cvt_f32_i32_e32 v148, v148
	v_add_f32_e32 v151, 0, v151
	v_cvt_f32_i32_e32 v149, v149
	v_add_f32_e32 v147, v151, v147
	v_fma_f32 v148, v144, v148, v143
	v_add_f32_e32 v147, v147, v148
	v_fmac_f32_e32 v143, v144, v149
	v_mov_b32_e32 v144, 0
	v_dot4c_i32_i8_e32 v144, v145, v70
	v_mov_b32_e32 v145, 0
	v_dot4c_i32_i8_e32 v145, v146, v71
	v_add_f32_e32 v143, v147, v143
	v_cvt_f32_i32_e32 v144, v144
	v_mul_f32_e32 v121, v23, v121
	v_cvt_f32_i32_e32 v145, v145
	v_mul_f32_e32 v120, v22, v120
	v_fma_f32 v144, v140, v144, v139
	v_add_f32_e32 v143, v143, v144
	v_fmac_f32_e32 v139, v140, v145
	v_mov_b32_e32 v140, 0
	v_dot4c_i32_i8_e32 v140, v141, v72
	v_mov_b32_e32 v141, 0
	v_dot4c_i32_i8_e32 v141, v142, v73
	v_mul_f32_e32 v142, 0x3e000000, v121
	v_cvt_f32_i32_e32 v140, v140
	v_add_f32_e32 v139, v143, v139
	v_cvt_f32_i32_e32 v141, v141
	v_mul_f32_e32 v47, v25, v47
	v_mul_f32_e32 v46, v24, v46
	;; [unrolled: 1-line block ×3, first 2 shown]
	v_pk_fma_f32 v[120:121], v[120:121], v[140:141], v[142:143] op_sel_hi:[0,1,0]
	v_add_f32_e32 v120, v139, v120
	v_add_f32_e32 v139, v120, v121
	v_mov_b32_e32 v120, 0
	v_mov_b32_e32 v121, 0
	v_dot4c_i32_i8_e32 v120, v137, v74
	v_dot4c_i32_i8_e32 v121, v138, v75
	v_mul_f32_e32 v138, 0x3e000000, v47
	v_mul_f32_e32 v42, v26, v42
	v_cvt_f32_i32_e32 v120, v120
	v_cvt_f32_i32_e32 v121, v121
	v_mul_f32_e32 v39, v29, v39
	v_mul_f32_e32 v36, v28, v36
	;; [unrolled: 1-line block ×3, first 2 shown]
	v_pk_fma_f32 v[46:47], v[46:47], v[120:121], v[138:139] op_sel_hi:[0,1,0]
	v_add_f32_e32 v46, v139, v46
	v_add_f32_e32 v120, v46, v47
	v_mov_b32_e32 v46, 0
	v_mov_b32_e32 v47, 0
	v_dot4c_i32_i8_e32 v46, v118, v76
	v_dot4c_i32_i8_e32 v47, v119, v77
	v_mul_f32_e32 v118, 0x3e000000, v43
	v_mul_f32_e32 v32, v30, v32
	v_cvt_f32_i32_e32 v46, v46
	v_cvt_f32_i32_e32 v47, v47
	v_pk_fma_f32 v[42:43], v[42:43], v[46:47], v[118:119] op_sel_hi:[0,1,0]
	v_add_f32_e32 v42, v120, v42
	v_add_f32_e32 v46, v42, v43
	v_mov_b32_e32 v42, 0
	v_mov_b32_e32 v43, 0
	v_dot4c_i32_i8_e32 v42, v44, v78
	v_dot4c_i32_i8_e32 v43, v45, v79
	v_mul_f32_e32 v44, 0x3e000000, v39
	s_nop 0
	v_cvt_f32_i32_e32 v42, v42
	v_cvt_f32_i32_e32 v43, v43
	v_pk_fma_f32 v[42:43], v[36:37], v[42:43], v[44:45] op_sel_hi:[0,1,0]
	v_add_f32_e32 v36, v46, v42
	v_add_f32_e32 v39, v36, v43
	v_mov_b32_e32 v36, 0
	v_dot4c_i32_i8_e32 v36, v40, v80
	v_mov_b32_e32 v40, 0
	v_dot4c_i32_i8_e32 v40, v41, v81
	s_nop 2
	v_cvt_f32_i32_e32 v41, v40
	v_cvt_f32_i32_e32 v40, v36
	v_mul_f32_e32 v36, 0x3e000000, v33
	v_pk_fma_f32 v[32:33], v[32:33], v[40:41], v[36:37] op_sel_hi:[0,1,0]
	v_add_f32_e32 v32, v39, v32
	v_add_f32_e32 v32, v32, v33
	ds_bpermute_b32 v33, v129, v32
	s_waitcnt lgkmcnt(0)
	v_add_f32_e32 v32, v32, v33
	ds_bpermute_b32 v33, v130, v32
	s_waitcnt lgkmcnt(0)
	v_add_f32_e32 v32, v32, v33
	v_cmp_nlt_f32_e64 s[14:15], |v32|, s42
                                        ; implicit-def: $vgpr33
	s_and_saveexec_b64 s[40:41], s[14:15]
	s_xor_b64 s[14:15], exec, s[40:41]
	s_cbranch_execz .LBB31_29
; %bb.28:                               ;   in Loop: Header=BB31_21 Depth=1
	v_add_f32_e64 v33, |v32|, |v32|
	v_mul_f32_e32 v36, 0x3fb8aa3b, v33
	v_rndne_f32_e32 v39, v36
	v_sub_f32_e32 v40, v36, v39
	v_fma_f32 v36, v33, s43, -v36
	v_fmac_f32_e32 v36, 0x32a5705f, v33
	v_add_f32_e32 v36, v40, v36
	v_cvt_i32_f32_e32 v39, v39
	v_exp_f32_e32 v36, v36
	v_cmp_ngt_f32_e32 vcc, s46, v33
	v_ldexp_f32 v36, v36, v39
	s_nop 0
	v_cndmask_b32_e32 v36, 0, v36, vcc
	v_cmp_nlt_f32_e32 vcc, s47, v33
	s_nop 1
	v_cndmask_b32_e32 v33, v136, v36, vcc
	v_add_f32_e32 v33, 1.0, v33
	v_rcp_f32_e32 v33, v33
	s_nop 0
	v_fma_f32 v33, v33, -2.0, 1.0
.LBB31_29:                              ;   in Loop: Header=BB31_21 Depth=1
	s_andn2_saveexec_b64 s[14:15], s[14:15]
; %bb.30:                               ;   in Loop: Header=BB31_21 Depth=1
	v_mul_f32_e32 v33, v32, v32
	v_fmamk_f32 v36, v33, 0xbbbac73d, v83
	v_fmaak_f32 v36, v33, v36, 0xbd5c1c4e
	v_fmaak_f32 v36, v33, v36, 0x3e088382
	;; [unrolled: 1-line block ×3, first 2 shown]
	v_mul_f32_e64 v36, |v32|, v36
	v_fma_f32 v33, v33, v36, |v32|
; %bb.31:                               ;   in Loop: Header=BB31_21 Depth=1
	s_or_b64 exec, exec, s[14:15]
	v_bfi_b32 v32, s52, v33, v32
	v_cndmask_b32_e64 v33, 0, 1, s[38:39]
	v_cmp_ne_u32_e64 s[14:15], 1, v33
	s_andn2_b64 vcc, exec, s[38:39]
	v_mul_f32_e32 v36, s23, v32
	s_cbranch_vccnz .LBB31_33
; %bb.32:                               ;   in Loop: Header=BB31_21 Depth=1
	v_lshl_add_u64 v[32:33], v[90:91], 1, s[28:29]
	global_load_ushort v32, v[32:33], off
	s_waitcnt vmcnt(0)
	v_fma_mix_f32 v36, v127, v32, v36 op_sel_hi:[0,1,0]
.LBB31_33:                              ;   in Loop: Header=BB31_21 Depth=1
	v_lshl_add_u64 v[32:33], s[34:35], 0, v[92:93]
	global_load_dword v39, v[32:33], off
	global_load_dword v40, v[32:33], off offset:20
	global_load_dword v41, v[32:33], off offset:40
	;; [unrolled: 1-line block ×7, first 2 shown]
	v_lshl_add_u64 v[32:33], v[32:33], 0, v[84:85]
	global_load_dword v120, v[32:33], off offset:4
	global_load_dword v121, v[32:33], off offset:24
	;; [unrolled: 1-line block ×8, first 2 shown]
	v_mov_b32_e32 v155, 0
	v_mov_b32_e32 v156, 0
	;; [unrolled: 1-line block ×6, first 2 shown]
	s_waitcnt vmcnt(15)
	v_cvt_f32_f16_e32 v150, v39
	v_cvt_f32_f16_sdwa v149, v39 dst_sel:DWORD dst_unused:UNUSED_PAD src0_sel:WORD_1
	s_waitcnt vmcnt(7)
	v_and_b32_e32 v153, 0xf0f0f0f, v120
	v_lshrrev_b32_e32 v39, 4, v120
	v_cvt_f32_f16_e32 v137, v42
	v_cvt_f32_f16_sdwa v138, v42 dst_sel:DWORD dst_unused:UNUSED_PAD src0_sel:WORD_1
	v_dot4c_i32_i8_e32 v155, v153, v50
	v_cvt_f32_f16_sdwa v145, v40 dst_sel:DWORD dst_unused:UNUSED_PAD src0_sel:WORD_1
	v_cvt_f32_f16_e32 v118, v43
	s_waitcnt vmcnt(0)
	v_and_b32_e32 v42, 0xf0f0f0f, v154
	v_lshrrev_b32_e32 v163, 4, v154
	v_and_b32_e32 v154, 0xf0f0f0f, v39
	v_cvt_f32_f16_sdwa v119, v43 dst_sel:DWORD dst_unused:UNUSED_PAD src0_sel:WORD_1
	v_and_b32_e32 v151, 0xf0f0f0f, v121
	v_lshrrev_b32_e32 v43, 4, v121
	v_cvt_f32_i32_e32 v39, v155
	v_dot4c_i32_i8_e32 v156, v154, v51
	v_cvt_f32_f16_e32 v146, v40
	v_cvt_f32_f16_e32 v142, v41
	v_cvt_f32_f16_sdwa v141, v41 dst_sel:DWORD dst_unused:UNUSED_PAD src0_sel:WORD_1
	v_cvt_f32_f16_e32 v40, v46
	v_cvt_f32_f16_sdwa v41, v46 dst_sel:DWORD dst_unused:UNUSED_PAD src0_sel:WORD_1
	v_and_b32_e32 v147, 0xf0f0f0f, v139
	v_lshrrev_b32_e32 v121, 4, v140
	v_lshrrev_b32_e32 v161, 4, v148
	v_and_b32_e32 v46, 0xf0f0f0f, v152
	v_lshrrev_b32_e32 v162, 4, v152
	v_and_b32_e32 v152, 0xf0f0f0f, v43
	v_dot4c_i32_i8_e32 v157, v151, v52
	v_cvt_f32_i32_e32 v156, v156
	v_cvt_f32_f16_e32 v32, v47
	v_cvt_f32_f16_sdwa v33, v47 dst_sel:DWORD dst_unused:UNUSED_PAD src0_sel:WORD_1
	v_lshrrev_b32_e32 v47, 4, v139
	v_and_b32_e32 v143, 0xf0f0f0f, v140
	v_and_b32_e32 v139, 0xf0f0f0f, v144
	v_lshrrev_b32_e32 v140, 4, v144
	v_and_b32_e32 v144, 0xf0f0f0f, v121
	v_and_b32_e32 v121, 0xf0f0f0f, v161
	v_dot4c_i32_i8_e32 v159, v147, v54
	v_cvt_f32_i32_e32 v155, v157
	v_dot4c_i32_i8_e32 v158, v152, v53
	v_mul_f32_e32 v161, v1, v149
	v_cvt_f32_i32_e32 v157, v159
	v_mul_f32_e32 v159, v0, v150
	v_cvt_f32_i32_e32 v158, v158
	v_mul_f32_e32 v161, 0x3e000000, v161
	v_and_b32_e32 v43, 0xf0f0f0f, v163
	v_mul_f32_e32 v163, v3, v145
	v_fma_f32 v39, v159, v39, v161
	v_and_b32_e32 v120, 0xf0f0f0f, v148
	v_and_b32_e32 v148, 0xf0f0f0f, v47
	;; [unrolled: 1-line block ×3, first 2 shown]
	v_mul_f32_e32 v162, v2, v146
	v_mul_f32_e32 v163, 0x3e000000, v163
	v_add_f32_e32 v39, 0, v39
	v_fmac_f32_e32 v161, v159, v156
	v_mul_f32_e32 v165, v5, v141
	v_fma_f32 v155, v162, v155, v163
	v_add_f32_e32 v39, v39, v161
	v_mul_f32_e32 v164, v4, v142
	v_mul_f32_e32 v165, 0x3e000000, v165
	v_fmac_f32_e32 v163, v162, v158
	v_add_f32_e32 v39, v39, v155
	v_add_f32_e32 v39, v39, v163
	v_fma_f32 v155, v164, v157, v165
	v_dot4c_i32_i8_e32 v160, v148, v55
	v_add_f32_e32 v39, v39, v155
	v_mov_b32_e32 v155, 0
	v_mov_b32_e32 v157, 0
	v_cvt_f32_i32_e32 v160, v160
	v_dot4c_i32_i8_e32 v155, v143, v56
	v_dot4c_i32_i8_e32 v157, v144, v57
	v_mul_f32_e32 v158, v6, v137
	v_fmac_f32_e32 v165, v164, v160
	v_cvt_f32_i32_e32 v156, v155
	v_cvt_f32_i32_e32 v157, v157
	v_mul_f32_e32 v155, v7, v138
	v_mul_f32_e32 v160, 0x3e000000, v155
	v_add_f32_e32 v39, v39, v165
	v_pk_fma_f32 v[156:157], v[158:159], v[156:157], v[160:161] op_sel_hi:[0,1,0]
	v_add_f32_e32 v39, v39, v156
	v_and_b32_e32 v140, 0xf0f0f0f, v140
	v_add_f32_e32 v39, v39, v157
	v_mov_b32_e32 v155, 0
	v_mov_b32_e32 v157, 0
	v_dot4c_i32_i8_e32 v155, v139, v58
	v_dot4c_i32_i8_e32 v157, v140, v59
	v_mul_f32_e32 v158, v8, v118
	v_cvt_f32_f16_e32 v44, v45
	v_cvt_f32_i32_e32 v156, v155
	v_cvt_f32_i32_e32 v157, v157
	v_mul_f32_e32 v155, v9, v119
	v_mul_f32_e32 v160, 0x3e000000, v155
	v_cvt_f32_f16_sdwa v45, v45 dst_sel:DWORD dst_unused:UNUSED_PAD src0_sel:WORD_1
	v_pk_fma_f32 v[156:157], v[158:159], v[156:157], v[160:161] op_sel_hi:[0,1,0]
	v_add_f32_e32 v39, v39, v156
	v_add_f32_e32 v39, v39, v157
	v_mov_b32_e32 v155, 0
	v_mov_b32_e32 v157, 0
	v_dot4c_i32_i8_e32 v155, v120, v60
	v_dot4c_i32_i8_e32 v157, v121, v61
	v_mul_f32_e32 v158, v10, v44
	s_nop 0
	v_cvt_f32_i32_e32 v156, v155
	v_cvt_f32_i32_e32 v157, v157
	v_mul_f32_e32 v155, v11, v45
	v_mul_f32_e32 v160, 0x3e000000, v155
	v_mov_b32_e32 v155, 0
	v_pk_fma_f32 v[156:157], v[158:159], v[156:157], v[160:161] op_sel_hi:[0,1,0]
	v_add_f32_e32 v39, v39, v156
	v_add_f32_e32 v39, v39, v157
	v_mov_b32_e32 v157, 0
	v_dot4c_i32_i8_e32 v155, v46, v62
	v_dot4c_i32_i8_e32 v157, v47, v63
	v_mul_f32_e32 v158, v12, v40
	s_nop 0
	v_cvt_f32_i32_e32 v156, v155
	v_cvt_f32_i32_e32 v157, v157
	v_mul_f32_e32 v155, v13, v41
	v_mul_f32_e32 v160, 0x3e000000, v155
	v_mov_b32_e32 v155, 0
	v_pk_fma_f32 v[156:157], v[158:159], v[156:157], v[160:161] op_sel_hi:[0,1,0]
	v_add_f32_e32 v39, v39, v156
	v_add_f32_e32 v39, v39, v157
	v_mov_b32_e32 v157, 0
	v_dot4c_i32_i8_e32 v155, v42, v64
	v_dot4c_i32_i8_e32 v157, v43, v65
	v_mul_f32_e32 v158, v14, v32
	s_nop 0
	v_cvt_f32_i32_e32 v156, v155
	v_cvt_f32_i32_e32 v157, v157
	v_mul_f32_e32 v155, v15, v33
	v_mul_f32_e32 v160, 0x3e000000, v155
	v_pk_fma_f32 v[156:157], v[158:159], v[156:157], v[160:161] op_sel_hi:[0,1,0]
	v_add_f32_e32 v39, v39, v156
	v_add_f32_e32 v39, v39, v157
	ds_bpermute_b32 v155, v129, v39
	s_waitcnt lgkmcnt(0)
	v_add_f32_e32 v39, v39, v155
	ds_bpermute_b32 v155, v130, v39
	s_waitcnt lgkmcnt(0)
	v_add_f32_e32 v39, v39, v155
	v_cmp_nlt_f32_e64 s[40:41], |v39|, s42
                                        ; implicit-def: $vgpr155
	s_and_saveexec_b64 s[54:55], s[40:41]
	s_xor_b64 s[40:41], exec, s[54:55]
	s_cbranch_execz .LBB31_35
; %bb.34:                               ;   in Loop: Header=BB31_21 Depth=1
	v_add_f32_e64 v155, |v39|, |v39|
	v_mul_f32_e32 v156, 0x3fb8aa3b, v155
	v_rndne_f32_e32 v157, v156
	v_sub_f32_e32 v158, v156, v157
	v_fma_f32 v156, v155, s43, -v156
	v_fmac_f32_e32 v156, 0x32a5705f, v155
	v_add_f32_e32 v156, v158, v156
	v_cvt_i32_f32_e32 v157, v157
	v_exp_f32_e32 v156, v156
	v_cmp_ngt_f32_e32 vcc, s46, v155
	v_ldexp_f32 v156, v156, v157
	s_nop 0
	v_cndmask_b32_e32 v156, 0, v156, vcc
	v_cmp_nlt_f32_e32 vcc, s47, v155
	s_nop 1
	v_cndmask_b32_e32 v155, v136, v156, vcc
	v_add_f32_e32 v155, 1.0, v155
	v_rcp_f32_e32 v155, v155
	s_nop 0
	v_fma_f32 v155, v155, -2.0, 1.0
.LBB31_35:                              ;   in Loop: Header=BB31_21 Depth=1
	s_andn2_saveexec_b64 s[40:41], s[40:41]
; %bb.36:                               ;   in Loop: Header=BB31_21 Depth=1
	v_mul_f32_e32 v155, v39, v39
	v_fmamk_f32 v156, v155, 0xbbbac73d, v83
	v_fmaak_f32 v156, v155, v156, 0xbd5c1c4e
	v_fmaak_f32 v156, v155, v156, 0x3e088382
	;; [unrolled: 1-line block ×3, first 2 shown]
	v_mul_f32_e64 v156, |v39|, v156
	v_fma_f32 v155, v155, v156, |v39|
; %bb.37:                               ;   in Loop: Header=BB31_21 Depth=1
	s_or_b64 exec, exec, s[40:41]
	v_bfi_b32 v39, s52, v155, v39
	s_and_b64 vcc, exec, s[12:13]
	v_mul_f32_e32 v39, s23, v39
	s_cbranch_vccnz .LBB31_39
; %bb.38:                               ;   in Loop: Header=BB31_21 Depth=1
	global_load_ushort v155, v38, s[28:29] offset:2
	s_waitcnt vmcnt(0)
	v_fma_mix_f32 v39, v127, v155, v39 op_sel_hi:[0,1,0]
.LBB31_39:                              ;   in Loop: Header=BB31_21 Depth=1
	v_mov_b32_e32 v155, 0
	v_dot4c_i32_i8_e32 v155, v153, v66
	v_mul_f32_e32 v149, v17, v149
	v_mul_f32_e32 v150, v16, v150
	;; [unrolled: 1-line block ×3, first 2 shown]
	v_cvt_f32_i32_e32 v153, v155
	v_mov_b32_e32 v155, 0
	v_dot4c_i32_i8_e32 v155, v154, v67
	v_mul_f32_e32 v145, v19, v145
	v_fma_f32 v153, v150, v153, v149
	v_mul_f32_e32 v146, v18, v146
	v_cvt_f32_i32_e32 v154, v155
	v_mul_f32_e32 v145, 0x3e000000, v145
	v_mul_f32_e32 v141, v21, v141
	;; [unrolled: 1-line block ×3, first 2 shown]
	v_fmac_f32_e32 v149, v150, v154
	v_mov_b32_e32 v150, 0
	v_dot4c_i32_i8_e32 v150, v151, v68
	v_mov_b32_e32 v151, 0
	v_dot4c_i32_i8_e32 v151, v152, v69
	v_mul_f32_e32 v141, 0x3e000000, v141
	v_cvt_f32_i32_e32 v150, v150
	v_add_f32_e32 v153, 0, v153
	v_cvt_f32_i32_e32 v151, v151
	v_add_f32_e32 v149, v153, v149
	v_fma_f32 v150, v146, v150, v145
	v_add_f32_e32 v149, v149, v150
	v_fmac_f32_e32 v145, v146, v151
	v_mov_b32_e32 v146, 0
	v_dot4c_i32_i8_e32 v146, v147, v70
	v_mov_b32_e32 v147, 0
	v_dot4c_i32_i8_e32 v147, v148, v71
	v_add_f32_e32 v145, v149, v145
	v_cvt_f32_i32_e32 v146, v146
	v_mul_f32_e32 v119, v25, v119
	v_cvt_f32_i32_e32 v147, v147
	v_mul_f32_e32 v118, v24, v118
	v_fma_f32 v146, v142, v146, v141
	v_add_f32_e32 v145, v145, v146
	v_fmac_f32_e32 v141, v142, v147
	v_mov_b32_e32 v142, 0
	v_dot4c_i32_i8_e32 v142, v143, v72
	v_mov_b32_e32 v143, 0
	v_dot4c_i32_i8_e32 v143, v144, v73
	v_mul_f32_e32 v144, v22, v137
	v_cvt_f32_i32_e32 v142, v142
	v_mul_f32_e32 v137, v23, v138
	v_cvt_f32_i32_e32 v143, v143
	v_mul_f32_e32 v138, 0x3e000000, v137
	v_add_f32_e32 v141, v145, v141
	v_mul_f32_e32 v45, v27, v45
	v_pk_fma_f32 v[142:143], v[144:145], v[142:143], v[138:139] op_sel_hi:[0,1,0]
	v_mov_b32_e32 v138, 0
	v_dot4c_i32_i8_e32 v138, v139, v74
	v_mov_b32_e32 v139, 0
	v_dot4c_i32_i8_e32 v139, v140, v75
	v_add_f32_e32 v137, v141, v142
	v_cvt_f32_i32_e32 v138, v138
	v_mul_f32_e32 v140, 0x3e000000, v119
	v_cvt_f32_i32_e32 v139, v139
	v_add_f32_e32 v137, v137, v143
	v_mul_f32_e32 v44, v26, v44
	v_mul_f32_e32 v41, v29, v41
	v_pk_fma_f32 v[118:119], v[118:119], v[138:139], v[140:141] op_sel_hi:[0,1,0]
	v_add_f32_e32 v118, v137, v118
	v_add_f32_e32 v137, v118, v119
	v_mov_b32_e32 v118, 0
	v_mov_b32_e32 v119, 0
	v_dot4c_i32_i8_e32 v118, v120, v76
	v_dot4c_i32_i8_e32 v119, v121, v77
	v_mul_f32_e32 v120, 0x3e000000, v45
	v_mul_f32_e32 v40, v28, v40
	v_cvt_f32_i32_e32 v118, v118
	v_cvt_f32_i32_e32 v119, v119
	v_mul_f32_e32 v33, v31, v33
	v_mul_f32_e32 v32, v30, v32
	v_pk_fma_f32 v[44:45], v[44:45], v[118:119], v[120:121] op_sel_hi:[0,1,0]
	v_add_f32_e32 v44, v137, v44
	v_add_f32_e32 v118, v44, v45
	v_mov_b32_e32 v44, 0
	v_mov_b32_e32 v45, 0
	v_dot4c_i32_i8_e32 v44, v46, v78
	v_dot4c_i32_i8_e32 v45, v47, v79
	v_mul_f32_e32 v46, 0x3e000000, v41
	s_nop 0
	v_cvt_f32_i32_e32 v44, v44
	v_cvt_f32_i32_e32 v45, v45
	v_pk_fma_f32 v[40:41], v[40:41], v[44:45], v[46:47] op_sel_hi:[0,1,0]
	v_add_f32_e32 v40, v118, v40
	v_add_f32_e32 v44, v40, v41
	v_mov_b32_e32 v40, 0
	v_mov_b32_e32 v41, 0
	v_dot4c_i32_i8_e32 v40, v42, v80
	v_dot4c_i32_i8_e32 v41, v43, v81
	v_mul_f32_e32 v42, 0x3e000000, v33
	s_nop 0
	v_cvt_f32_i32_e32 v40, v40
	v_cvt_f32_i32_e32 v41, v41
	v_pk_fma_f32 v[32:33], v[32:33], v[40:41], v[42:43] op_sel_hi:[0,1,0]
	v_add_f32_e32 v32, v44, v32
	v_add_f32_e32 v32, v32, v33
	ds_bpermute_b32 v33, v129, v32
	s_waitcnt lgkmcnt(0)
	v_add_f32_e32 v32, v32, v33
	ds_bpermute_b32 v33, v130, v32
	s_waitcnt lgkmcnt(0)
	v_add_f32_e32 v32, v32, v33
	v_cmp_nlt_f32_e64 s[40:41], |v32|, s42
                                        ; implicit-def: $vgpr33
	s_and_saveexec_b64 s[54:55], s[40:41]
	s_xor_b64 s[40:41], exec, s[54:55]
	s_cbranch_execz .LBB31_41
; %bb.40:                               ;   in Loop: Header=BB31_21 Depth=1
	v_add_f32_e64 v33, |v32|, |v32|
	v_mul_f32_e32 v40, 0x3fb8aa3b, v33
	v_rndne_f32_e32 v41, v40
	v_sub_f32_e32 v42, v40, v41
	v_fma_f32 v40, v33, s43, -v40
	v_fmac_f32_e32 v40, 0x32a5705f, v33
	v_add_f32_e32 v40, v42, v40
	v_cvt_i32_f32_e32 v41, v41
	v_exp_f32_e32 v40, v40
	v_cmp_ngt_f32_e32 vcc, s46, v33
	v_ldexp_f32 v40, v40, v41
	s_nop 0
	v_cndmask_b32_e32 v40, 0, v40, vcc
	v_cmp_nlt_f32_e32 vcc, s47, v33
	s_nop 1
	v_cndmask_b32_e32 v33, v136, v40, vcc
	v_add_f32_e32 v33, 1.0, v33
	v_rcp_f32_e32 v33, v33
	s_nop 0
	v_fma_f32 v33, v33, -2.0, 1.0
.LBB31_41:                              ;   in Loop: Header=BB31_21 Depth=1
	s_andn2_saveexec_b64 s[40:41], s[40:41]
; %bb.42:                               ;   in Loop: Header=BB31_21 Depth=1
	v_mul_f32_e32 v33, v32, v32
	v_fmamk_f32 v40, v33, 0xbbbac73d, v83
	v_fmaak_f32 v40, v33, v40, 0xbd5c1c4e
	v_fmaak_f32 v40, v33, v40, 0x3e088382
	;; [unrolled: 1-line block ×3, first 2 shown]
	v_mul_f32_e64 v40, |v32|, v40
	v_fma_f32 v33, v33, v40, |v32|
; %bb.43:                               ;   in Loop: Header=BB31_21 Depth=1
	s_or_b64 exec, exec, s[40:41]
	v_bfi_b32 v32, s52, v33, v32
	v_mul_f32_e32 v40, s23, v32
	s_and_b64 vcc, exec, s[14:15]
	v_lshl_add_u64 v[32:33], v[114:115], 1, s[28:29]
	s_cbranch_vccnz .LBB31_45
; %bb.44:                               ;   in Loop: Header=BB31_21 Depth=1
	global_load_ushort v41, v[32:33], off offset:2
	s_waitcnt vmcnt(0)
	v_fma_mix_f32 v40, v127, v41, v40 op_sel_hi:[0,1,0]
.LBB31_45:                              ;   in Loop: Header=BB31_21 Depth=1
	v_lshl_add_u64 v[160:161], s[34:35], 0, v[94:95]
	v_lshl_add_u64 v[42:43], v[160:161], 0, v[84:85]
	global_load_dword v41, v[42:43], off offset:4
	global_load_dword v44, v[160:161], off
	s_waitcnt vmcnt(1)
	v_and_b32_e32 v154, 0xf0f0f0f, v41
	v_lshrrev_b32_e32 v41, 4, v41
	v_and_b32_e32 v155, 0xf0f0f0f, v41
	global_load_dword v41, v[42:43], off offset:24
	s_waitcnt vmcnt(1)
	v_cvt_f32_f16_e32 v158, v44
	v_cvt_f32_f16_sdwa v157, v44 dst_sel:DWORD dst_unused:UNUSED_PAD src0_sel:WORD_1
	global_load_dword v44, v[160:161], off offset:20
	v_mul_f32_e32 v159, v0, v158
	s_waitcnt vmcnt(1)
	v_and_b32_e32 v149, 0xf0f0f0f, v41
	v_lshrrev_b32_e32 v41, 4, v41
	v_and_b32_e32 v151, 0xf0f0f0f, v41
	global_load_dword v41, v[42:43], off offset:44
	s_waitcnt vmcnt(1)
	v_cvt_f32_f16_e32 v156, v44
	v_cvt_f32_f16_sdwa v153, v44 dst_sel:DWORD dst_unused:UNUSED_PAD src0_sel:WORD_1
	global_load_dword v44, v[160:161], off offset:40
	s_waitcnt vmcnt(1)
	v_and_b32_e32 v146, 0xf0f0f0f, v41
	v_lshrrev_b32_e32 v41, 4, v41
	v_and_b32_e32 v148, 0xf0f0f0f, v41
	global_load_dword v41, v[42:43], off offset:64
	s_waitcnt vmcnt(1)
	v_cvt_f32_f16_e32 v152, v44
	v_cvt_f32_f16_sdwa v150, v44 dst_sel:DWORD dst_unused:UNUSED_PAD src0_sel:WORD_1
	global_load_dword v44, v[160:161], off offset:60
	;; [unrolled: 9-line block ×6, first 2 shown]
	v_mov_b32_e32 v161, 0
	v_dot4c_i32_i8_e32 v161, v155, v51
	v_mul_f32_e32 v160, v1, v157
	v_mul_f32_e32 v160, 0x3e000000, v160
	s_waitcnt vmcnt(1)
	v_and_b32_e32 v42, 0xf0f0f0f, v41
	v_lshrrev_b32_e32 v41, 4, v41
	v_and_b32_e32 v118, 0xf0f0f0f, v41
	v_mov_b32_e32 v41, 0
	v_dot4c_i32_i8_e32 v41, v154, v50
	v_cvt_f32_i32_e32 v161, v161
	s_waitcnt vmcnt(0)
	v_cvt_f32_f16_e32 v43, v44
	v_cvt_f32_f16_sdwa v44, v44 dst_sel:DWORD dst_unused:UNUSED_PAD src0_sel:WORD_1
	v_cvt_f32_i32_e32 v41, v41
	v_fma_f32 v41, v159, v41, v160
	v_fmac_f32_e32 v160, v159, v161
	v_mov_b32_e32 v159, 0
	v_dot4c_i32_i8_e32 v159, v149, v52
	v_add_f32_e32 v41, 0, v41
	v_mul_f32_e32 v161, v3, v153
	v_add_f32_e32 v41, v41, v160
	v_cvt_f32_i32_e32 v159, v159
	v_mul_f32_e32 v160, v2, v156
	v_mul_f32_e32 v161, 0x3e000000, v161
	v_fma_f32 v159, v160, v159, v161
	v_add_f32_e32 v41, v41, v159
	v_mov_b32_e32 v159, 0
	v_dot4c_i32_i8_e32 v159, v151, v53
	s_nop 2
	v_cvt_f32_i32_e32 v159, v159
	v_fmac_f32_e32 v161, v160, v159
	v_mov_b32_e32 v159, 0
	v_dot4c_i32_i8_e32 v159, v146, v54
	v_add_f32_e32 v41, v41, v161
	v_mul_f32_e32 v161, v5, v150
	v_mul_f32_e32 v160, v4, v152
	v_cvt_f32_i32_e32 v159, v159
	v_mul_f32_e32 v161, 0x3e000000, v161
	v_fma_f32 v159, v160, v159, v161
	v_add_f32_e32 v41, v41, v159
	v_mov_b32_e32 v159, 0
	v_dot4c_i32_i8_e32 v159, v148, v55
	s_nop 2
	v_cvt_f32_i32_e32 v159, v159
	v_fmac_f32_e32 v161, v160, v159
	v_add_f32_e32 v41, v41, v161
	v_mul_f32_e32 v161, v7, v144
	v_mov_b32_e32 v159, 0
	v_mul_f32_e32 v162, 0x3e000000, v161
	v_mov_b32_e32 v161, 0
	v_dot4c_i32_i8_e32 v159, v142, v56
	v_dot4c_i32_i8_e32 v161, v147, v57
	v_mul_f32_e32 v160, v6, v143
	s_nop 0
	v_cvt_f32_i32_e32 v164, v159
	v_cvt_f32_i32_e32 v165, v161
	v_mov_b32_e32 v159, 0
	v_dot4c_i32_i8_e32 v159, v138, v58
	v_pk_fma_f32 v[160:161], v[160:161], v[164:165], v[162:163] op_sel_hi:[0,1,0]
	v_add_f32_e32 v41, v41, v160
	v_add_f32_e32 v41, v41, v161
	v_mul_f32_e32 v161, v9, v140
	v_mul_f32_e32 v162, 0x3e000000, v161
	v_mov_b32_e32 v161, 0
	v_dot4c_i32_i8_e32 v161, v145, v59
	v_cvt_f32_i32_e32 v164, v159
	v_mul_f32_e32 v160, v8, v139
	v_mov_b32_e32 v159, 0
	v_cvt_f32_i32_e32 v165, v161
	v_dot4c_i32_i8_e32 v159, v119, v60
	v_pk_fma_f32 v[160:161], v[160:161], v[164:165], v[162:163] op_sel_hi:[0,1,0]
	v_add_f32_e32 v41, v41, v160
	v_add_f32_e32 v41, v41, v161
	v_mul_f32_e32 v161, v11, v121
	v_mul_f32_e32 v162, 0x3e000000, v161
	v_mov_b32_e32 v161, 0
	v_dot4c_i32_i8_e32 v161, v141, v61
	v_cvt_f32_i32_e32 v164, v159
	v_mul_f32_e32 v160, v10, v120
	v_mov_b32_e32 v159, 0
	v_cvt_f32_i32_e32 v165, v161
	;; [unrolled: 12-line block ×3, first 2 shown]
	v_dot4c_i32_i8_e32 v159, v42, v64
	v_pk_fma_f32 v[160:161], v[160:161], v[164:165], v[162:163] op_sel_hi:[0,1,0]
	v_add_f32_e32 v41, v41, v160
	v_add_f32_e32 v41, v41, v161
	v_mul_f32_e32 v161, v15, v44
	v_mul_f32_e32 v162, 0x3e000000, v161
	v_mov_b32_e32 v161, 0
	v_dot4c_i32_i8_e32 v161, v118, v65
	v_cvt_f32_i32_e32 v164, v159
	v_mul_f32_e32 v160, v14, v43
	s_nop 0
	v_cvt_f32_i32_e32 v165, v161
	v_pk_fma_f32 v[160:161], v[160:161], v[164:165], v[162:163] op_sel_hi:[0,1,0]
	v_add_f32_e32 v41, v41, v160
	v_add_f32_e32 v41, v41, v161
	ds_bpermute_b32 v159, v129, v41
	s_waitcnt lgkmcnt(0)
	v_add_f32_e32 v41, v41, v159
	ds_bpermute_b32 v159, v130, v41
	s_waitcnt lgkmcnt(0)
	v_add_f32_e32 v41, v41, v159
	v_cmp_nlt_f32_e64 s[40:41], |v41|, s42
                                        ; implicit-def: $vgpr159
	s_and_saveexec_b64 s[54:55], s[40:41]
	s_xor_b64 s[40:41], exec, s[54:55]
	s_cbranch_execz .LBB31_47
; %bb.46:                               ;   in Loop: Header=BB31_21 Depth=1
	v_add_f32_e64 v159, |v41|, |v41|
	v_mul_f32_e32 v160, 0x3fb8aa3b, v159
	v_rndne_f32_e32 v161, v160
	v_sub_f32_e32 v162, v160, v161
	v_fma_f32 v160, v159, s43, -v160
	v_fmac_f32_e32 v160, 0x32a5705f, v159
	v_add_f32_e32 v160, v162, v160
	v_cvt_i32_f32_e32 v161, v161
	v_exp_f32_e32 v160, v160
	v_cmp_ngt_f32_e32 vcc, s46, v159
	v_ldexp_f32 v160, v160, v161
	s_nop 0
	v_cndmask_b32_e32 v160, 0, v160, vcc
	v_cmp_nlt_f32_e32 vcc, s47, v159
	s_nop 1
	v_cndmask_b32_e32 v159, v136, v160, vcc
	v_add_f32_e32 v159, 1.0, v159
	v_rcp_f32_e32 v159, v159
	s_nop 0
	v_fma_f32 v159, v159, -2.0, 1.0
.LBB31_47:                              ;   in Loop: Header=BB31_21 Depth=1
	s_andn2_saveexec_b64 s[40:41], s[40:41]
; %bb.48:                               ;   in Loop: Header=BB31_21 Depth=1
	v_mul_f32_e32 v159, v41, v41
	v_fmamk_f32 v160, v159, 0xbbbac73d, v83
	v_fmaak_f32 v160, v159, v160, 0xbd5c1c4e
	v_fmaak_f32 v160, v159, v160, 0x3e088382
	;; [unrolled: 1-line block ×3, first 2 shown]
	v_mul_f32_e64 v160, |v41|, v160
	v_fma_f32 v159, v159, v160, |v41|
; %bb.49:                               ;   in Loop: Header=BB31_21 Depth=1
	s_or_b64 exec, exec, s[40:41]
	v_bfi_b32 v41, s52, v159, v41
	s_and_b64 vcc, exec, s[12:13]
	v_mul_f32_e32 v41, s23, v41
	s_cbranch_vccnz .LBB31_51
; %bb.50:                               ;   in Loop: Header=BB31_21 Depth=1
	global_load_ushort v159, v38, s[28:29] offset:4
	s_waitcnt vmcnt(0)
	v_fma_mix_f32 v41, v127, v159, v41 op_sel_hi:[0,1,0]
.LBB31_51:                              ;   in Loop: Header=BB31_21 Depth=1
	v_mov_b32_e32 v159, 0
	v_dot4c_i32_i8_e32 v159, v154, v66
	v_mul_f32_e32 v154, v16, v158
	v_mul_f32_e32 v157, v17, v157
	;; [unrolled: 1-line block ×3, first 2 shown]
	v_cvt_f32_i32_e32 v158, v159
	v_mov_b32_e32 v159, 0
	v_dot4c_i32_i8_e32 v159, v155, v67
	v_mul_f32_e32 v153, v19, v153
	v_fma_f32 v158, v154, v158, v157
	v_mul_f32_e32 v153, 0x3e000000, v153
	v_cvt_f32_i32_e32 v155, v159
	v_mul_f32_e32 v150, v21, v150
	v_mul_f32_e32 v150, 0x3e000000, v150
	v_add_f32_e32 v158, 0, v158
	v_fmac_f32_e32 v157, v154, v155
	v_mov_b32_e32 v155, 0
	v_dot4c_i32_i8_e32 v155, v149, v68
	v_mul_f32_e32 v149, v18, v156
	v_mov_b32_e32 v156, 0
	v_dot4c_i32_i8_e32 v156, v151, v69
	v_cvt_f32_i32_e32 v155, v155
	v_add_f32_e32 v154, v158, v157
	v_mul_f32_e32 v120, v26, v120
	v_cvt_f32_i32_e32 v151, v156
	v_fma_f32 v155, v149, v155, v153
	v_add_f32_e32 v154, v154, v155
	v_mul_f32_e32 v46, v28, v46
	v_fmac_f32_e32 v153, v149, v151
	v_mov_b32_e32 v151, 0
	v_dot4c_i32_i8_e32 v151, v146, v70
	v_mul_f32_e32 v146, v20, v152
	v_mov_b32_e32 v152, 0
	v_dot4c_i32_i8_e32 v152, v148, v71
	v_cvt_f32_i32_e32 v151, v151
	v_add_f32_e32 v149, v154, v153
	v_fma_f32 v151, v146, v151, v150
	v_cvt_f32_i32_e32 v148, v152
	v_add_f32_e32 v149, v149, v151
	v_fmac_f32_e32 v150, v146, v148
	v_mov_b32_e32 v146, 0
	v_dot4c_i32_i8_e32 v146, v142, v72
	v_mov_b32_e32 v142, 0
	v_dot4c_i32_i8_e32 v142, v147, v73
	v_add_f32_e32 v148, v149, v150
	v_cvt_f32_i32_e32 v146, v146
	s_nop 0
	v_cvt_f32_i32_e32 v147, v142
	v_mul_f32_e32 v142, v22, v143
	v_mul_f32_e32 v143, v23, v144
	;; [unrolled: 1-line block ×3, first 2 shown]
	v_pk_fma_f32 v[142:143], v[142:143], v[146:147], v[144:145] op_sel_hi:[0,1,0]
	v_add_f32_e32 v142, v148, v142
	v_add_f32_e32 v144, v142, v143
	v_mov_b32_e32 v142, 0
	v_dot4c_i32_i8_e32 v142, v138, v74
	v_mov_b32_e32 v138, 0
	v_dot4c_i32_i8_e32 v138, v145, v75
	s_nop 0
	v_cvt_f32_i32_e32 v142, v142
	s_nop 0
	v_cvt_f32_i32_e32 v143, v138
	v_mul_f32_e32 v138, v24, v139
	v_mul_f32_e32 v139, v25, v140
	;; [unrolled: 1-line block ×3, first 2 shown]
	v_pk_fma_f32 v[138:139], v[138:139], v[142:143], v[140:141] op_sel_hi:[0,1,0]
	v_add_f32_e32 v138, v144, v138
	v_add_f32_e32 v142, v138, v139
	v_mov_b32_e32 v138, 0
	v_dot4c_i32_i8_e32 v138, v119, v76
	v_mov_b32_e32 v119, 0
	v_dot4c_i32_i8_e32 v119, v141, v77
	s_nop 0
	v_cvt_f32_i32_e32 v138, v138
	s_nop 0
	v_cvt_f32_i32_e32 v139, v119
	v_mul_f32_e32 v119, v27, v121
	v_mul_f32_e32 v140, 0x3e000000, v119
	v_pk_fma_f32 v[120:121], v[120:121], v[138:139], v[140:141] op_sel_hi:[0,1,0]
	v_add_f32_e32 v119, v142, v120
	v_mov_b32_e32 v120, 0
	v_dot4c_i32_i8_e32 v120, v45, v78
	v_mov_b32_e32 v45, 0
	v_dot4c_i32_i8_e32 v45, v137, v79
	v_add_f32_e32 v119, v119, v121
	v_cvt_f32_i32_e32 v120, v120
	s_nop 0
	v_cvt_f32_i32_e32 v121, v45
	v_mul_f32_e32 v45, v29, v47
	v_mul_f32_e32 v138, 0x3e000000, v45
	v_pk_fma_f32 v[46:47], v[46:47], v[120:121], v[138:139] op_sel_hi:[0,1,0]
	v_add_f32_e32 v45, v119, v46
	v_mov_b32_e32 v46, 0
	v_dot4c_i32_i8_e32 v46, v42, v80
	v_mov_b32_e32 v42, 0
	v_dot4c_i32_i8_e32 v42, v118, v81
	v_add_f32_e32 v45, v45, v47
	v_cvt_f32_i32_e32 v46, v46
	s_nop 0
	v_cvt_f32_i32_e32 v47, v42
	v_mul_f32_e32 v42, v30, v43
	v_mul_f32_e32 v43, v31, v44
	;; [unrolled: 1-line block ×3, first 2 shown]
	v_pk_fma_f32 v[42:43], v[42:43], v[46:47], v[44:45] op_sel_hi:[0,1,0]
	v_add_f32_e32 v42, v45, v42
	v_add_f32_e32 v42, v42, v43
	ds_bpermute_b32 v43, v129, v42
	s_waitcnt lgkmcnt(0)
	v_add_f32_e32 v42, v42, v43
	ds_bpermute_b32 v43, v130, v42
	s_waitcnt lgkmcnt(0)
	v_add_f32_e32 v42, v42, v43
	v_cmp_nlt_f32_e64 s[40:41], |v42|, s42
                                        ; implicit-def: $vgpr43
	s_and_saveexec_b64 s[54:55], s[40:41]
	s_xor_b64 s[40:41], exec, s[54:55]
	s_cbranch_execz .LBB31_53
; %bb.52:                               ;   in Loop: Header=BB31_21 Depth=1
	v_add_f32_e64 v43, |v42|, |v42|
	v_mul_f32_e32 v44, 0x3fb8aa3b, v43
	v_rndne_f32_e32 v45, v44
	v_sub_f32_e32 v46, v44, v45
	v_fma_f32 v44, v43, s43, -v44
	v_fmac_f32_e32 v44, 0x32a5705f, v43
	v_add_f32_e32 v44, v46, v44
	v_cvt_i32_f32_e32 v45, v45
	v_exp_f32_e32 v44, v44
	v_cmp_ngt_f32_e32 vcc, s46, v43
	v_ldexp_f32 v44, v44, v45
	s_nop 0
	v_cndmask_b32_e32 v44, 0, v44, vcc
	v_cmp_nlt_f32_e32 vcc, s47, v43
	s_nop 1
	v_cndmask_b32_e32 v43, v136, v44, vcc
	v_add_f32_e32 v43, 1.0, v43
	v_rcp_f32_e32 v43, v43
	s_nop 0
	v_fma_f32 v43, v43, -2.0, 1.0
.LBB31_53:                              ;   in Loop: Header=BB31_21 Depth=1
	s_andn2_saveexec_b64 s[40:41], s[40:41]
; %bb.54:                               ;   in Loop: Header=BB31_21 Depth=1
	v_mul_f32_e32 v43, v42, v42
	v_fmamk_f32 v44, v43, 0xbbbac73d, v83
	v_fmaak_f32 v44, v43, v44, 0xbd5c1c4e
	v_fmaak_f32 v44, v43, v44, 0x3e088382
	;; [unrolled: 1-line block ×3, first 2 shown]
	v_mul_f32_e64 v44, |v42|, v44
	v_fma_f32 v43, v43, v44, |v42|
; %bb.55:                               ;   in Loop: Header=BB31_21 Depth=1
	s_or_b64 exec, exec, s[40:41]
	v_bfi_b32 v42, s52, v43, v42
	s_and_b64 vcc, exec, s[14:15]
	v_mul_f32_e32 v42, s23, v42
	s_cbranch_vccnz .LBB31_57
; %bb.56:                               ;   in Loop: Header=BB31_21 Depth=1
	global_load_ushort v43, v[32:33], off offset:4
	s_waitcnt vmcnt(0)
	v_fma_mix_f32 v42, v127, v43, v42 op_sel_hi:[0,1,0]
.LBB31_57:                              ;   in Loop: Header=BB31_21 Depth=1
	v_lshl_add_u64 v[44:45], s[34:35], 0, v[96:97]
	v_lshl_add_u64 v[160:161], v[44:45], 0, v[84:85]
	global_load_dword v43, v[160:161], off offset:4
	global_load_dword v46, v[44:45], off
	global_load_dword v118, v[44:45], off offset:120
	global_load_dword v119, v[160:161], off offset:144
	v_mov_b32_e32 v163, 0
	v_mov_b32_e32 v165, 0
	s_waitcnt vmcnt(2)
	v_cvt_f32_f16_e32 v159, v46
	v_cvt_f32_f16_sdwa v158, v46 dst_sel:DWORD dst_unused:UNUSED_PAD src0_sel:WORD_1
	global_load_dword v46, v[44:45], off offset:20
	v_and_b32_e32 v155, 0xf0f0f0f, v43
	v_lshrrev_b32_e32 v43, 4, v43
	v_and_b32_e32 v156, 0xf0f0f0f, v43
	global_load_dword v43, v[160:161], off offset:24
	v_dot4c_i32_i8_e32 v163, v156, v51
	v_mul_f32_e32 v162, v1, v158
	v_mul_f32_e32 v162, 0x3e000000, v162
	s_waitcnt vmcnt(3)
	v_cvt_f32_f16_e32 v47, v118
	v_cvt_f32_i32_e32 v163, v163
	v_cvt_f32_f16_sdwa v118, v118 dst_sel:DWORD dst_unused:UNUSED_PAD src0_sel:WORD_1
	s_waitcnt vmcnt(1)
	v_cvt_f32_f16_e32 v157, v46
	v_cvt_f32_f16_sdwa v154, v46 dst_sel:DWORD dst_unused:UNUSED_PAD src0_sel:WORD_1
	global_load_dword v46, v[44:45], off offset:40
	s_waitcnt vmcnt(1)
	v_and_b32_e32 v150, 0xf0f0f0f, v43
	v_lshrrev_b32_e32 v43, 4, v43
	v_and_b32_e32 v152, 0xf0f0f0f, v43
	global_load_dword v43, v[160:161], off offset:44
	s_waitcnt vmcnt(1)
	v_cvt_f32_f16_e32 v153, v46
	v_cvt_f32_f16_sdwa v151, v46 dst_sel:DWORD dst_unused:UNUSED_PAD src0_sel:WORD_1
	global_load_dword v46, v[44:45], off offset:60
	s_waitcnt vmcnt(1)
	v_and_b32_e32 v147, 0xf0f0f0f, v43
	v_lshrrev_b32_e32 v43, 4, v43
	v_and_b32_e32 v149, 0xf0f0f0f, v43
	global_load_dword v43, v[160:161], off offset:64
	;; [unrolled: 9-line block ×3, first 2 shown]
	v_dot4c_i32_i8_e32 v165, v148, v57
	s_waitcnt vmcnt(1)
	v_cvt_f32_f16_e32 v140, v46
	v_cvt_f32_f16_sdwa v141, v46 dst_sel:DWORD dst_unused:UNUSED_PAD src0_sel:WORD_1
	global_load_dword v46, v[44:45], off offset:100
	v_cvt_f32_i32_e32 v165, v165
	global_load_dword v45, v[44:45], off offset:140
	s_waitcnt vmcnt(2)
	v_and_b32_e32 v139, 0xf0f0f0f, v43
	v_lshrrev_b32_e32 v43, 4, v43
	v_and_b32_e32 v146, 0xf0f0f0f, v43
	global_load_dword v43, v[160:161], off offset:104
	s_waitcnt vmcnt(2)
	v_cvt_f32_f16_sdwa v137, v46 dst_sel:DWORD dst_unused:UNUSED_PAD src0_sel:WORD_1
	v_cvt_f32_f16_e32 v121, v46
	s_waitcnt vmcnt(1)
	v_cvt_f32_f16_e32 v44, v45
	v_cvt_f32_f16_sdwa v45, v45 dst_sel:DWORD dst_unused:UNUSED_PAD src0_sel:WORD_1
	s_waitcnt vmcnt(0)
	v_and_b32_e32 v120, 0xf0f0f0f, v43
	v_lshrrev_b32_e32 v43, 4, v43
	v_and_b32_e32 v142, 0xf0f0f0f, v43
	global_load_dword v43, v[160:161], off offset:124
	v_mov_b32_e32 v160, 0
	v_dot4c_i32_i8_e32 v160, v155, v50
	v_mul_f32_e32 v161, v0, v159
	s_waitcnt vmcnt(0)
	v_and_b32_e32 v46, 0xf0f0f0f, v43
	v_cvt_f32_i32_e32 v160, v160
	v_lshrrev_b32_e32 v43, 4, v43
	v_and_b32_e32 v138, 0xf0f0f0f, v43
	v_and_b32_e32 v43, 0xf0f0f0f, v119
	v_fma_f32 v160, v161, v160, v162
	v_fmac_f32_e32 v162, v161, v163
	v_mov_b32_e32 v161, 0
	v_dot4c_i32_i8_e32 v161, v150, v52
	v_add_f32_e32 v160, 0, v160
	v_mul_f32_e32 v163, v3, v154
	v_add_f32_e32 v160, v160, v162
	v_cvt_f32_i32_e32 v161, v161
	v_mul_f32_e32 v162, v2, v157
	v_mul_f32_e32 v163, 0x3e000000, v163
	v_lshrrev_b32_e32 v119, 4, v119
	v_fma_f32 v161, v162, v161, v163
	v_add_f32_e32 v160, v160, v161
	v_mov_b32_e32 v161, 0
	v_dot4c_i32_i8_e32 v161, v152, v53
	v_and_b32_e32 v119, 0xf0f0f0f, v119
	s_nop 1
	v_cvt_f32_i32_e32 v161, v161
	v_fmac_f32_e32 v163, v162, v161
	v_mov_b32_e32 v161, 0
	v_dot4c_i32_i8_e32 v161, v147, v54
	v_add_f32_e32 v160, v160, v163
	v_mul_f32_e32 v163, v5, v151
	v_mul_f32_e32 v162, v4, v153
	v_cvt_f32_i32_e32 v161, v161
	v_mul_f32_e32 v163, 0x3e000000, v163
	v_fma_f32 v161, v162, v161, v163
	v_add_f32_e32 v160, v160, v161
	v_mov_b32_e32 v161, 0
	v_dot4c_i32_i8_e32 v161, v149, v55
	s_nop 2
	v_cvt_f32_i32_e32 v161, v161
	v_fmac_f32_e32 v163, v162, v161
	v_mov_b32_e32 v161, 0
	v_dot4c_i32_i8_e32 v161, v143, v56
	v_mul_f32_e32 v162, v7, v145
	v_add_f32_e32 v163, v160, v163
	v_mul_f32_e32 v160, v6, v144
	v_cvt_f32_i32_e32 v164, v161
	v_mul_f32_e32 v162, 0x3e000000, v162
	v_pk_fma_f32 v[160:161], v[160:161], v[164:165], v[162:163] op_sel_hi:[0,1,0]
	v_add_f32_e32 v160, v163, v160
	v_add_f32_e32 v163, v160, v161
	v_mov_b32_e32 v161, 0
	v_mov_b32_e32 v165, 0
	v_dot4c_i32_i8_e32 v161, v139, v58
	v_dot4c_i32_i8_e32 v165, v146, v59
	v_mul_f32_e32 v162, v9, v141
	v_mul_f32_e32 v160, v8, v140
	v_cvt_f32_i32_e32 v164, v161
	v_cvt_f32_i32_e32 v165, v165
	v_mul_f32_e32 v162, 0x3e000000, v162
	v_pk_fma_f32 v[160:161], v[160:161], v[164:165], v[162:163] op_sel_hi:[0,1,0]
	v_add_f32_e32 v160, v163, v160
	v_add_f32_e32 v163, v160, v161
	v_mov_b32_e32 v161, 0
	v_mov_b32_e32 v165, 0
	v_dot4c_i32_i8_e32 v161, v120, v60
	v_dot4c_i32_i8_e32 v165, v142, v61
	v_mul_f32_e32 v162, v11, v137
	v_mul_f32_e32 v160, v10, v121
	v_cvt_f32_i32_e32 v164, v161
	;; [unrolled: 12-line block ×4, first 2 shown]
	v_cvt_f32_i32_e32 v165, v165
	v_mul_f32_e32 v162, 0x3e000000, v162
	v_pk_fma_f32 v[160:161], v[160:161], v[164:165], v[162:163] op_sel_hi:[0,1,0]
	v_add_f32_e32 v160, v163, v160
	v_add_f32_e32 v160, v160, v161
	ds_bpermute_b32 v161, v129, v160
	s_waitcnt lgkmcnt(0)
	v_add_f32_e32 v160, v160, v161
	ds_bpermute_b32 v161, v130, v160
	s_waitcnt lgkmcnt(0)
	v_add_f32_e32 v160, v160, v161
	v_cmp_nlt_f32_e64 s[40:41], |v160|, s42
                                        ; implicit-def: $vgpr161
	s_and_saveexec_b64 s[54:55], s[40:41]
	s_xor_b64 s[40:41], exec, s[54:55]
	s_cbranch_execz .LBB31_59
; %bb.58:                               ;   in Loop: Header=BB31_21 Depth=1
	v_add_f32_e64 v161, |v160|, |v160|
	v_mul_f32_e32 v162, 0x3fb8aa3b, v161
	v_rndne_f32_e32 v163, v162
	v_sub_f32_e32 v164, v162, v163
	v_fma_f32 v162, v161, s43, -v162
	v_fmac_f32_e32 v162, 0x32a5705f, v161
	v_add_f32_e32 v162, v164, v162
	v_cvt_i32_f32_e32 v163, v163
	v_exp_f32_e32 v162, v162
	v_cmp_ngt_f32_e32 vcc, s46, v161
	v_ldexp_f32 v162, v162, v163
	s_nop 0
	v_cndmask_b32_e32 v162, 0, v162, vcc
	v_cmp_nlt_f32_e32 vcc, s47, v161
	s_nop 1
	v_cndmask_b32_e32 v161, v136, v162, vcc
	v_add_f32_e32 v161, 1.0, v161
	v_rcp_f32_e32 v161, v161
	s_nop 0
	v_fma_f32 v161, v161, -2.0, 1.0
.LBB31_59:                              ;   in Loop: Header=BB31_21 Depth=1
	s_andn2_saveexec_b64 s[40:41], s[40:41]
; %bb.60:                               ;   in Loop: Header=BB31_21 Depth=1
	v_mul_f32_e32 v161, v160, v160
	v_fmamk_f32 v162, v161, 0xbbbac73d, v83
	v_fmaak_f32 v162, v161, v162, 0xbd5c1c4e
	v_fmaak_f32 v162, v161, v162, 0x3e088382
	;; [unrolled: 1-line block ×3, first 2 shown]
	v_mul_f32_e64 v162, |v160|, v162
	v_fma_f32 v161, v161, v162, |v160|
; %bb.61:                               ;   in Loop: Header=BB31_21 Depth=1
	s_or_b64 exec, exec, s[40:41]
	v_bfi_b32 v160, s52, v161, v160
	s_and_b64 vcc, exec, s[12:13]
	v_mul_f32_e32 v160, s23, v160
	s_cbranch_vccnz .LBB31_63
; %bb.62:                               ;   in Loop: Header=BB31_21 Depth=1
	global_load_ushort v38, v38, s[28:29] offset:6
	s_waitcnt vmcnt(0)
	v_fma_mix_f32 v160, v127, v38, v160 op_sel_hi:[0,1,0]
.LBB31_63:                              ;   in Loop: Header=BB31_21 Depth=1
	v_mov_b32_e32 v38, 0
	v_dot4c_i32_i8_e32 v38, v155, v66
	v_mul_f32_e32 v155, v16, v159
	v_mov_b32_e32 v159, 0
	v_dot4c_i32_i8_e32 v159, v156, v67
	v_cvt_f32_i32_e32 v38, v38
	v_mul_f32_e32 v158, v17, v158
	v_mul_f32_e32 v158, 0x3e000000, v158
	v_cvt_f32_i32_e32 v156, v159
	v_fma_f32 v38, v155, v38, v158
	v_mul_f32_e32 v154, v19, v154
	v_mul_f32_e32 v154, 0x3e000000, v154
	v_fmac_f32_e32 v158, v155, v156
	v_mov_b32_e32 v155, 0
	v_mov_b32_e32 v156, 0
	v_dot4c_i32_i8_e32 v155, v150, v68
	v_dot4c_i32_i8_e32 v156, v152, v69
	v_mul_f32_e32 v150, v18, v157
	v_add_f32_e32 v38, 0, v38
	v_cvt_f32_i32_e32 v155, v155
	v_cvt_f32_i32_e32 v152, v156
	v_add_f32_e32 v38, v38, v158
	v_mul_f32_e32 v151, v21, v151
	v_fma_f32 v155, v150, v155, v154
	v_fmac_f32_e32 v154, v150, v152
	v_mov_b32_e32 v150, 0
	v_dot4c_i32_i8_e32 v150, v147, v70
	v_mov_b32_e32 v152, 0
	v_dot4c_i32_i8_e32 v152, v149, v71
	v_add_f32_e32 v38, v38, v155
	v_cvt_f32_i32_e32 v150, v150
	v_mul_f32_e32 v147, v20, v153
	v_cvt_f32_i32_e32 v149, v152
	v_mul_f32_e32 v151, 0x3e000000, v151
	v_add_f32_e32 v38, v38, v154
	v_fma_f32 v150, v147, v150, v151
	v_add_f32_e32 v38, v38, v150
	v_fmac_f32_e32 v151, v147, v149
	v_add_f32_e32 v147, v38, v151
	v_mov_b32_e32 v38, 0
	v_dot4c_i32_i8_e32 v38, v143, v72
	v_mov_b32_e32 v143, 0
	v_dot4c_i32_i8_e32 v143, v148, v73
	s_nop 0
	v_cvt_f32_i32_e32 v148, v38
	v_mul_f32_e32 v38, v22, v144
	v_cvt_f32_i32_e32 v149, v143
	v_mul_f32_e32 v143, v23, v145
	v_mul_f32_e32 v144, 0x3e000000, v143
	v_pk_fma_f32 v[144:145], v[38:39], v[148:149], v[144:145] op_sel_hi:[0,1,0]
	v_add_f32_e32 v38, v147, v144
	v_add_f32_e32 v143, v38, v145
	v_mov_b32_e32 v38, 0
	v_dot4c_i32_i8_e32 v38, v139, v74
	v_mov_b32_e32 v139, 0
	v_dot4c_i32_i8_e32 v139, v146, v75
	s_nop 0
	v_cvt_f32_i32_e32 v144, v38
	v_mul_f32_e32 v38, v24, v140
	v_cvt_f32_i32_e32 v145, v139
	v_mul_f32_e32 v139, v25, v141
	v_mul_f32_e32 v140, 0x3e000000, v139
	v_pk_fma_f32 v[140:141], v[38:39], v[144:145], v[140:141] op_sel_hi:[0,1,0]
	v_add_f32_e32 v38, v143, v140
	;; [unrolled: 13-line block ×5, first 2 shown]
	v_add_f32_e32 v38, v38, v45
	ds_bpermute_b32 v43, v129, v38
	s_waitcnt lgkmcnt(0)
	v_add_f32_e32 v38, v38, v43
	ds_bpermute_b32 v43, v130, v38
	s_waitcnt lgkmcnt(0)
	v_add_f32_e32 v38, v38, v43
	v_cmp_nlt_f32_e64 s[12:13], |v38|, s42
                                        ; implicit-def: $vgpr43
	s_and_saveexec_b64 s[40:41], s[12:13]
	s_xor_b64 s[12:13], exec, s[40:41]
	s_cbranch_execz .LBB31_65
; %bb.64:                               ;   in Loop: Header=BB31_21 Depth=1
	v_add_f32_e64 v43, |v38|, |v38|
	v_mul_f32_e32 v44, 0x3fb8aa3b, v43
	v_rndne_f32_e32 v45, v44
	v_sub_f32_e32 v46, v44, v45
	v_fma_f32 v44, v43, s43, -v44
	v_fmac_f32_e32 v44, 0x32a5705f, v43
	v_add_f32_e32 v44, v46, v44
	v_cvt_i32_f32_e32 v45, v45
	v_exp_f32_e32 v44, v44
	v_cmp_ngt_f32_e32 vcc, s46, v43
	v_ldexp_f32 v44, v44, v45
	s_nop 0
	v_cndmask_b32_e32 v44, 0, v44, vcc
	v_cmp_nlt_f32_e32 vcc, s47, v43
	s_nop 1
	v_cndmask_b32_e32 v43, v136, v44, vcc
	v_add_f32_e32 v43, 1.0, v43
	v_rcp_f32_e32 v43, v43
	s_nop 0
	v_fma_f32 v43, v43, -2.0, 1.0
.LBB31_65:                              ;   in Loop: Header=BB31_21 Depth=1
	s_andn2_saveexec_b64 s[12:13], s[12:13]
; %bb.66:                               ;   in Loop: Header=BB31_21 Depth=1
	v_mul_f32_e32 v43, v38, v38
	v_fmamk_f32 v44, v43, 0xbbbac73d, v83
	v_fmaak_f32 v44, v43, v44, 0xbd5c1c4e
	v_fmaak_f32 v44, v43, v44, 0x3e088382
	;; [unrolled: 1-line block ×3, first 2 shown]
	v_mul_f32_e64 v44, |v38|, v44
	v_fma_f32 v43, v43, v44, |v38|
; %bb.67:                               ;   in Loop: Header=BB31_21 Depth=1
	s_or_b64 exec, exec, s[12:13]
	v_bfi_b32 v38, s52, v43, v38
	s_and_b64 vcc, exec, s[14:15]
	v_mul_f32_e32 v38, s23, v38
	s_cbranch_vccnz .LBB31_69
; %bb.68:                               ;   in Loop: Header=BB31_21 Depth=1
	global_load_ushort v32, v[32:33], off offset:6
	s_waitcnt vmcnt(0)
	v_fma_mix_f32 v38, v127, v32, v38 op_sel_hi:[0,1,0]
.LBB31_69:                              ;   in Loop: Header=BB31_21 Depth=1
	v_cndmask_b32_e64 v32, v116, v35, s[4:5]
	v_cndmask_b32_e64 v33, v117, v36, s[4:5]
	;; [unrolled: 1-line block ×3, first 2 shown]
	v_add_f32_e32 v35, 0x40051340, v35
	v_add_f32_e32 v39, 0x40051340, v39
	v_cndmask_b32_e64 v33, v33, v40, s[6:7]
	v_cndmask_b32_e64 v32, v32, v41, s[8:9]
	v_max3_f32 v35, v34, v35, v39
	v_add_f32_e32 v39, 0x40051340, v41
	v_add_f32_e32 v41, 0x40051340, v160
	v_cndmask_b32_e64 v33, v33, v42, s[8:9]
	v_max3_f32 v35, v35, v39, v41
	v_cndmask_b32_e64 v43, v33, v38, s[10:11]
	ds_bpermute_b32 v33, v131, v35
	v_add_f32_e32 v36, 0x40051340, v36
	v_add_f32_e32 v39, 0x40051340, v40
	v_max3_f32 v36, v37, v36, v39
	v_add_f32_e32 v39, 0x40051340, v42
	s_waitcnt lgkmcnt(0)
	v_max_f32_e32 v33, v33, v33
	v_max_f32_e32 v33, v35, v33
	ds_bpermute_b32 v35, v132, v33
	v_add_f32_e32 v40, 0x40051340, v38
	v_max3_f32 v42, v36, v39, v40
	v_cndmask_b32_e64 v32, v32, v160, s[10:11]
	s_add_i32 s24, s26, s24
	s_waitcnt lgkmcnt(0)
	v_max_f32_e32 v35, v35, v35
	v_max_f32_e32 v33, v33, v35
	ds_bpermute_b32 v35, v133, v33
	s_add_u32 s34, s34, s2
	s_addc_u32 s35, s35, 0
	scratch_load_dwordx4 v[38:41], off, off offset:16
	scratch_load_dwordx4 v[138:141], off, off offset:112
	s_waitcnt lgkmcnt(0)
	v_max_f32_e32 v35, v35, v35
	v_max_f32_e32 v118, v33, v35
	v_sub_f32_e32 v33, v34, v118
	v_mul_f32_e32 v34, 0x3fb8aa3b, v33
	v_fma_f32 v35, v33, s43, -v34
	v_rndne_f32_e32 v36, v34
	v_fmac_f32_e32 v35, 0x32a5705f, v33
	v_sub_f32_e32 v34, v34, v36
	v_add_f32_e32 v34, v34, v35
	v_exp_f32_e32 v34, v34
	v_cvt_i32_f32_e32 v35, v36
	v_cmp_ngt_f32_e32 vcc, s46, v33
	v_sub_f32_e32 v32, v32, v118
	v_ldexp_f32 v34, v34, v35
	v_cndmask_b32_e32 v34, 0, v34, vcc
	v_cmp_nlt_f32_e32 vcc, s47, v33
	v_mul_f32_e32 v33, 0x3fb8aa3b, v32
	v_rndne_f32_e32 v35, v33
	v_cndmask_b32_e32 v36, v136, v34, vcc
	v_fma_f32 v34, v32, s43, -v33
	v_fmac_f32_e32 v34, 0x32a5705f, v32
	v_sub_f32_e32 v33, v33, v35
	v_add_f32_e32 v33, v33, v34
	v_exp_f32_e32 v33, v33
	v_cvt_i32_f32_e32 v34, v35
	v_cmp_ngt_f32_e32 vcc, s46, v32
	v_ldexp_f32 v33, v33, v34
	s_nop 0
	v_cndmask_b32_e32 v33, 0, v33, vcc
	v_cmp_nlt_f32_e32 vcc, s47, v32
	s_nop 1
	v_cndmask_b32_e32 v116, v136, v33, vcc
	v_cvt_f16_f32_e32 v32, v116
	ds_write_b16 v124, v32
	v_cvt_f16_f32_e32 v32, v36
	v_mul_u32_u24_e32 v44, 0x10001, v32
	scratch_load_dwordx4 v[32:35], off, off
	s_waitcnt vmcnt(2)
	v_pk_mul_f16 v38, v38, v44
	v_pk_mul_f16 v39, v39, v44
	;; [unrolled: 1-line block ×4, first 2 shown]
	scratch_store_dwordx4 off, v[38:41], off offset:16
	scratch_load_dwordx4 v[38:41], off, off offset:32
	s_waitcnt vmcnt(2)
	v_pk_mul_f16 v32, v32, v44
	v_pk_mul_f16 v33, v33, v44
	;; [unrolled: 1-line block ×4, first 2 shown]
	scratch_store_dwordx4 off, v[32:35], off
	s_waitcnt vmcnt(1)
	v_pk_mul_f16 v38, v38, v44
	v_pk_mul_f16 v39, v39, v44
	;; [unrolled: 1-line block ×4, first 2 shown]
	scratch_store_dwordx4 off, v[38:41], off offset:32
	scratch_load_dwordx4 v[38:41], off, off offset:48
	s_waitcnt vmcnt(0)
	v_pk_mul_f16 v38, v38, v44
	v_pk_mul_f16 v39, v39, v44
	;; [unrolled: 1-line block ×4, first 2 shown]
	scratch_store_dwordx4 off, v[38:41], off offset:48
	ds_bpermute_b32 v38, v131, v42
	s_waitcnt lgkmcnt(0)
	v_max_f32_e32 v38, v38, v38
	v_max_f32_e32 v38, v42, v38
	ds_bpermute_b32 v39, v132, v38
	s_waitcnt lgkmcnt(0)
	v_max_f32_e32 v39, v39, v39
	v_max_f32_e32 v38, v38, v39
	ds_bpermute_b32 v39, v133, v38
	s_waitcnt lgkmcnt(0)
	v_max_f32_e32 v39, v39, v39
	v_max_f32_e32 v119, v38, v39
	v_sub_f32_e32 v37, v37, v119
	v_mul_f32_e32 v38, 0x3fb8aa3b, v37
	v_cmp_ngt_f32_e32 vcc, s46, v37
	v_fma_f32 v39, v37, s43, -v38
	v_rndne_f32_e32 v40, v38
	v_fmac_f32_e32 v39, 0x32a5705f, v37
	v_sub_f32_e32 v38, v38, v40
	v_add_f32_e32 v38, v38, v39
	v_cvt_i32_f32_e32 v39, v40
	v_exp_f32_e32 v38, v38
	s_nop 0
	v_ldexp_f32 v38, v38, v39
	v_cndmask_b32_e32 v38, 0, v38, vcc
	v_cmp_nlt_f32_e32 vcc, s47, v37
	s_nop 1
	v_cndmask_b32_e32 v37, v136, v38, vcc
	v_sub_f32_e32 v38, v43, v119
	v_mul_f32_e32 v39, 0x3fb8aa3b, v38
	v_cmp_ngt_f32_e32 vcc, s46, v38
	v_fma_f32 v40, v38, s43, -v39
	v_rndne_f32_e32 v41, v39
	v_fmac_f32_e32 v40, 0x32a5705f, v38
	v_sub_f32_e32 v39, v39, v41
	v_add_f32_e32 v39, v39, v40
	v_cvt_i32_f32_e32 v40, v41
	v_exp_f32_e32 v39, v39
	s_nop 0
	v_ldexp_f32 v39, v39, v40
	v_cndmask_b32_e32 v39, 0, v39, vcc
	v_cmp_nlt_f32_e32 vcc, s47, v38
	s_nop 1
	v_cndmask_b32_e32 v117, v136, v39, vcc
	v_pk_fma_f32 v[48:49], v[48:49], v[36:37], v[116:117]
	v_cvt_f16_f32_e32 v36, v117
	ds_write_b16 v124, v36 offset:256
	v_cvt_f16_f32_e32 v36, v37
	v_mul_u32_u24_e32 v120, 0x10001, v36
	scratch_load_dwordx4 v[36:39], off, off offset:64
	v_pk_mul_f16 v138, v138, v120
	v_pk_mul_f16 v139, v139, v120
	;; [unrolled: 1-line block ×4, first 2 shown]
	scratch_store_dwordx4 off, v[138:141], off offset:112
	s_waitcnt vmcnt(1)
	v_pk_mul_f16 v44, v36, v120
	v_pk_mul_f16 v45, v37, v120
	v_pk_mul_f16 v46, v38, v120
	v_pk_mul_f16 v47, v39, v120
	scratch_load_dwordx4 v[36:39], off, off offset:80
	s_waitcnt vmcnt(0)
	v_pk_mul_f16 v40, v36, v120
	v_pk_mul_f16 v41, v37, v120
	v_pk_mul_f16 v42, v38, v120
	v_pk_mul_f16 v43, v39, v120
	scratch_load_dwordx4 v[36:39], off, off offset:96
	s_waitcnt vmcnt(0)
	v_pk_mul_f16 v36, v36, v120
	v_pk_mul_f16 v37, v37, v120
	;; [unrolled: 1-line block ×4, first 2 shown]
	ds_read_u16 v120, v134
	scratch_store_dwordx4 off, v[44:47], off offset:64
	scratch_store_dwordx4 off, v[40:43], off offset:80
	;; [unrolled: 1-line block ×3, first 2 shown]
	s_waitcnt lgkmcnt(0)
	v_mul_u32_u24_e32 v137, 0x10001, v120
	ds_read_u16 v120, v134 offset:256
	s_waitcnt lgkmcnt(0)
	v_mul_u32_u24_e32 v138, 0x10001, v120
	v_lshl_add_u64 v[120:121], s[30:31], 0, v[98:99]
	v_lshl_add_u64 v[120:121], v[120:121], 0, v[86:87]
	global_load_dwordx4 v[140:143], v[120:121], off
	s_waitcnt vmcnt(0)
	v_lshlrev_b32_e32 v139, 16, v140
	v_and_b32_e32 v140, 0xffff0000, v140
	v_lshlrev_b32_e32 v144, 16, v141
	v_and_b32_e32 v141, 0xffff0000, v141
	;; [unrolled: 2-line block ×4, first 2 shown]
	v_cvt_pk_f16_f32 v139, v139, v140
	v_cvt_pk_f16_f32 v140, v144, v141
	;; [unrolled: 1-line block ×4, first 2 shown]
	v_pk_fma_f16 v32, v139, v137, v32
	v_pk_fma_f16 v33, v140, v137, v33
	;; [unrolled: 1-line block ×4, first 2 shown]
	scratch_store_dwordx4 off, v[32:35], off
	global_load_dwordx4 v[32:35], v[120:121], off offset:128
	v_pk_fma_f16 v44, v139, v138, v44
	v_pk_fma_f16 v45, v140, v138, v45
	;; [unrolled: 1-line block ×4, first 2 shown]
	scratch_store_dwordx4 off, v[44:47], off offset:64
	s_waitcnt vmcnt(1)
	s_nop 0
	v_lshlrev_b32_e32 v44, 16, v32
	v_and_b32_e32 v32, 0xffff0000, v32
	v_lshlrev_b32_e32 v45, 16, v33
	v_and_b32_e32 v33, 0xffff0000, v33
	v_lshlrev_b32_e32 v46, 16, v34
	v_and_b32_e32 v34, 0xffff0000, v34
	v_lshlrev_b32_e32 v47, 16, v35
	v_and_b32_e32 v35, 0xffff0000, v35
	v_cvt_pk_f16_f32 v44, v44, v32
	v_cvt_pk_f16_f32 v45, v45, v33
	;; [unrolled: 1-line block ×4, first 2 shown]
	scratch_load_dwordx4 v[32:35], off, off offset:16
	v_pk_fma_f16 v40, v44, v138, v40
	v_pk_fma_f16 v41, v45, v138, v41
	;; [unrolled: 1-line block ×4, first 2 shown]
	scratch_store_dwordx4 off, v[40:43], off offset:80
	s_waitcnt vmcnt(1)
	v_pk_fma_f16 v32, v44, v137, v32
	v_pk_fma_f16 v33, v45, v137, v33
	;; [unrolled: 1-line block ×4, first 2 shown]
	scratch_store_dwordx4 off, v[32:35], off offset:16
	global_load_dwordx4 v[32:35], v[120:121], off offset:256
	s_waitcnt vmcnt(0)
	v_lshlrev_b32_e32 v40, 16, v32
	v_and_b32_e32 v32, 0xffff0000, v32
	v_lshlrev_b32_e32 v41, 16, v33
	v_and_b32_e32 v33, 0xffff0000, v33
	;; [unrolled: 2-line block ×4, first 2 shown]
	v_cvt_pk_f16_f32 v40, v40, v32
	v_cvt_pk_f16_f32 v41, v41, v33
	;; [unrolled: 1-line block ×4, first 2 shown]
	scratch_load_dwordx4 v[32:35], off, off offset:32
	v_pk_fma_f16 v36, v40, v138, v36
	v_pk_fma_f16 v37, v41, v138, v37
	;; [unrolled: 1-line block ×4, first 2 shown]
	scratch_store_dwordx4 off, v[36:39], off offset:96
	s_waitcnt vmcnt(1)
	v_pk_fma_f16 v32, v40, v137, v32
	v_pk_fma_f16 v33, v41, v137, v33
	;; [unrolled: 1-line block ×4, first 2 shown]
	scratch_store_dwordx4 off, v[32:35], off offset:32
	global_load_dwordx4 v[32:35], v[120:121], off offset:384
	s_waitcnt vmcnt(0)
	v_lshlrev_b32_e32 v36, 16, v32
	v_and_b32_e32 v32, 0xffff0000, v32
	v_lshlrev_b32_e32 v37, 16, v33
	v_and_b32_e32 v33, 0xffff0000, v33
	;; [unrolled: 2-line block ×4, first 2 shown]
	v_cvt_pk_f16_f32 v40, v36, v32
	v_cvt_pk_f16_f32 v41, v37, v33
	;; [unrolled: 1-line block ×4, first 2 shown]
	scratch_load_dwordx4 v[32:35], off, off offset:48
	scratch_load_dwordx4 v[36:39], off, off offset:112
	s_waitcnt vmcnt(1)
	v_pk_fma_f16 v32, v40, v137, v32
	v_pk_fma_f16 v33, v41, v137, v33
	;; [unrolled: 1-line block ×4, first 2 shown]
	scratch_store_dwordx4 off, v[32:35], off offset:48
	s_waitcnt vmcnt(1)
	v_pk_fma_f16 v36, v40, v138, v36
	v_pk_fma_f16 v37, v41, v138, v37
	v_lshl_add_u64 v[34:35], s[30:31], 0, v[100:101]
	v_pk_fma_f16 v38, v42, v138, v38
	v_pk_fma_f16 v39, v43, v138, v39
	v_lshl_add_u64 v[42:43], v[34:35], 0, v[86:87]
	scratch_store_dwordx4 off, v[36:39], off offset:112
	global_load_dwordx4 v[34:37], v[42:43], off
	ds_read_u16 v32, v135 offset:8
	ds_read_u16 v33, v135 offset:264
	s_waitcnt lgkmcnt(1)
	v_mul_u32_u24_e32 v32, 0x10001, v32
	s_waitcnt lgkmcnt(0)
	v_mul_u32_u24_e32 v33, 0x10001, v33
	s_waitcnt vmcnt(0)
	v_lshlrev_b32_e32 v38, 16, v34
	v_and_b32_e32 v34, 0xffff0000, v34
	v_lshlrev_b32_e32 v39, 16, v35
	v_and_b32_e32 v35, 0xffff0000, v35
	;; [unrolled: 2-line block ×4, first 2 shown]
	v_cvt_pk_f16_f32 v44, v38, v34
	v_cvt_pk_f16_f32 v45, v39, v35
	;; [unrolled: 1-line block ×4, first 2 shown]
	scratch_load_dwordx4 v[34:37], off, off
	scratch_load_dwordx4 v[38:41], off, off offset:64
	s_waitcnt vmcnt(1)
	v_pk_fma_f16 v34, v44, v32, v34
	v_pk_fma_f16 v35, v45, v32, v35
	;; [unrolled: 1-line block ×4, first 2 shown]
	scratch_store_dwordx4 off, v[34:37], off
	global_load_dwordx4 v[34:37], v[42:43], off offset:128
	s_waitcnt vmcnt(2)
	v_pk_fma_f16 v38, v44, v33, v38
	v_pk_fma_f16 v39, v45, v33, v39
	v_pk_fma_f16 v40, v46, v33, v40
	v_pk_fma_f16 v41, v47, v33, v41
	scratch_store_dwordx4 off, v[38:41], off offset:64
	s_waitcnt vmcnt(1)
	s_nop 0
	v_lshlrev_b32_e32 v38, 16, v34
	v_and_b32_e32 v34, 0xffff0000, v34
	v_lshlrev_b32_e32 v39, 16, v35
	v_and_b32_e32 v35, 0xffff0000, v35
	;; [unrolled: 2-line block ×4, first 2 shown]
	v_cvt_pk_f16_f32 v44, v38, v34
	v_cvt_pk_f16_f32 v45, v39, v35
	;; [unrolled: 1-line block ×4, first 2 shown]
	scratch_load_dwordx4 v[34:37], off, off offset:16
	scratch_load_dwordx4 v[38:41], off, off offset:80
	s_waitcnt vmcnt(1)
	v_pk_fma_f16 v34, v44, v32, v34
	v_pk_fma_f16 v35, v45, v32, v35
	;; [unrolled: 1-line block ×4, first 2 shown]
	scratch_store_dwordx4 off, v[34:37], off offset:16
	global_load_dwordx4 v[34:37], v[42:43], off offset:256
	s_waitcnt vmcnt(2)
	v_pk_fma_f16 v38, v44, v33, v38
	v_pk_fma_f16 v39, v45, v33, v39
	;; [unrolled: 1-line block ×4, first 2 shown]
	scratch_store_dwordx4 off, v[38:41], off offset:80
	s_waitcnt vmcnt(1)
	s_nop 0
	v_lshlrev_b32_e32 v38, 16, v34
	v_and_b32_e32 v34, 0xffff0000, v34
	v_lshlrev_b32_e32 v39, 16, v35
	v_and_b32_e32 v35, 0xffff0000, v35
	;; [unrolled: 2-line block ×4, first 2 shown]
	v_cvt_pk_f16_f32 v44, v38, v34
	v_cvt_pk_f16_f32 v45, v39, v35
	;; [unrolled: 1-line block ×4, first 2 shown]
	scratch_load_dwordx4 v[34:37], off, off offset:32
	scratch_load_dwordx4 v[38:41], off, off offset:96
	s_waitcnt vmcnt(1)
	v_pk_fma_f16 v34, v44, v32, v34
	v_pk_fma_f16 v35, v45, v32, v35
	;; [unrolled: 1-line block ×4, first 2 shown]
	scratch_store_dwordx4 off, v[34:37], off offset:32
	global_load_dwordx4 v[34:37], v[42:43], off offset:384
	s_waitcnt vmcnt(2)
	v_pk_fma_f16 v38, v44, v33, v38
	v_pk_fma_f16 v39, v45, v33, v39
	;; [unrolled: 1-line block ×4, first 2 shown]
	scratch_store_dwordx4 off, v[38:41], off offset:96
	s_waitcnt vmcnt(1)
	s_nop 0
	v_lshlrev_b32_e32 v38, 16, v34
	v_and_b32_e32 v34, 0xffff0000, v34
	v_lshlrev_b32_e32 v39, 16, v35
	v_and_b32_e32 v35, 0xffff0000, v35
	;; [unrolled: 2-line block ×4, first 2 shown]
	v_cvt_pk_f16_f32 v42, v38, v34
	v_cvt_pk_f16_f32 v43, v39, v35
	;; [unrolled: 1-line block ×4, first 2 shown]
	scratch_load_dwordx4 v[34:37], off, off offset:48
	scratch_load_dwordx4 v[38:41], off, off offset:112
	s_waitcnt vmcnt(1)
	v_pk_fma_f16 v34, v42, v32, v34
	v_pk_fma_f16 v35, v43, v32, v35
	;; [unrolled: 1-line block ×4, first 2 shown]
	ds_read_u16 v32, v135 offset:16
	s_waitcnt vmcnt(0)
	v_pk_fma_f16 v38, v42, v33, v38
	v_pk_fma_f16 v39, v43, v33, v39
	;; [unrolled: 1-line block ×4, first 2 shown]
	s_waitcnt lgkmcnt(0)
	v_mul_u32_u24_e32 v42, 0x10001, v32
	ds_read_u16 v32, v135 offset:272
	scratch_store_dwordx4 off, v[38:41], off offset:112
	scratch_store_dwordx4 off, v[34:37], off offset:48
	s_waitcnt lgkmcnt(0)
	v_mul_u32_u24_e32 v43, 0x10001, v32
	v_lshl_add_u64 v[32:33], s[30:31], 0, v[102:103]
	v_lshl_add_u64 v[40:41], v[32:33], 0, v[86:87]
	global_load_dwordx4 v[32:35], v[40:41], off
	s_waitcnt vmcnt(0)
	v_lshlrev_b32_e32 v36, 16, v32
	v_and_b32_e32 v32, 0xffff0000, v32
	v_lshlrev_b32_e32 v37, 16, v33
	v_and_b32_e32 v33, 0xffff0000, v33
	;; [unrolled: 2-line block ×4, first 2 shown]
	v_cvt_pk_f16_f32 v44, v36, v32
	v_cvt_pk_f16_f32 v45, v37, v33
	;; [unrolled: 1-line block ×4, first 2 shown]
	scratch_load_dwordx4 v[32:35], off, off
	scratch_load_dwordx4 v[36:39], off, off offset:64
	s_waitcnt vmcnt(1)
	v_pk_fma_f16 v32, v44, v42, v32
	v_pk_fma_f16 v33, v45, v42, v33
	;; [unrolled: 1-line block ×4, first 2 shown]
	scratch_store_dwordx4 off, v[32:35], off
	global_load_dwordx4 v[32:35], v[40:41], off offset:128
	s_waitcnt vmcnt(2)
	v_pk_fma_f16 v36, v44, v43, v36
	v_pk_fma_f16 v37, v45, v43, v37
	v_pk_fma_f16 v38, v46, v43, v38
	v_pk_fma_f16 v39, v47, v43, v39
	scratch_store_dwordx4 off, v[36:39], off offset:64
	s_waitcnt vmcnt(1)
	s_nop 0
	v_lshlrev_b32_e32 v36, 16, v32
	v_and_b32_e32 v32, 0xffff0000, v32
	v_lshlrev_b32_e32 v37, 16, v33
	v_and_b32_e32 v33, 0xffff0000, v33
	v_lshlrev_b32_e32 v38, 16, v34
	v_and_b32_e32 v34, 0xffff0000, v34
	v_lshlrev_b32_e32 v39, 16, v35
	v_and_b32_e32 v35, 0xffff0000, v35
	v_cvt_pk_f16_f32 v44, v36, v32
	v_cvt_pk_f16_f32 v45, v37, v33
	v_cvt_pk_f16_f32 v46, v38, v34
	v_cvt_pk_f16_f32 v47, v39, v35
	scratch_load_dwordx4 v[32:35], off, off offset:16
	scratch_load_dwordx4 v[36:39], off, off offset:80
	s_waitcnt vmcnt(1)
	v_pk_fma_f16 v32, v44, v42, v32
	v_pk_fma_f16 v33, v45, v42, v33
	v_pk_fma_f16 v34, v46, v42, v34
	v_pk_fma_f16 v35, v47, v42, v35
	scratch_store_dwordx4 off, v[32:35], off offset:16
	global_load_dwordx4 v[32:35], v[40:41], off offset:256
	s_waitcnt vmcnt(2)
	v_pk_fma_f16 v36, v44, v43, v36
	v_pk_fma_f16 v37, v45, v43, v37
	v_pk_fma_f16 v38, v46, v43, v38
	v_pk_fma_f16 v39, v47, v43, v39
	scratch_store_dwordx4 off, v[36:39], off offset:80
	s_waitcnt vmcnt(1)
	s_nop 0
	v_lshlrev_b32_e32 v36, 16, v32
	v_and_b32_e32 v32, 0xffff0000, v32
	v_lshlrev_b32_e32 v37, 16, v33
	v_and_b32_e32 v33, 0xffff0000, v33
	v_lshlrev_b32_e32 v38, 16, v34
	v_and_b32_e32 v34, 0xffff0000, v34
	v_lshlrev_b32_e32 v39, 16, v35
	v_and_b32_e32 v35, 0xffff0000, v35
	v_cvt_pk_f16_f32 v44, v36, v32
	v_cvt_pk_f16_f32 v45, v37, v33
	v_cvt_pk_f16_f32 v46, v38, v34
	v_cvt_pk_f16_f32 v47, v39, v35
	scratch_load_dwordx4 v[32:35], off, off offset:32
	scratch_load_dwordx4 v[36:39], off, off offset:96
	s_waitcnt vmcnt(1)
	v_pk_fma_f16 v32, v44, v42, v32
	v_pk_fma_f16 v33, v45, v42, v33
	v_pk_fma_f16 v34, v46, v42, v34
	v_pk_fma_f16 v35, v47, v42, v35
	scratch_store_dwordx4 off, v[32:35], off offset:32
	;; [unrolled: 29-line block ×3, first 2 shown]
	ds_read_u16 v32, v135 offset:24
	s_waitcnt vmcnt(1)
	v_pk_fma_f16 v36, v40, v43, v36
	v_pk_fma_f16 v37, v41, v43, v37
	;; [unrolled: 1-line block ×4, first 2 shown]
	s_waitcnt lgkmcnt(0)
	v_mul_u32_u24_e32 v42, 0x10001, v32
	ds_read_u16 v32, v135 offset:280
	scratch_store_dwordx4 off, v[36:39], off offset:112
	s_waitcnt lgkmcnt(0)
	v_mul_u32_u24_e32 v43, 0x10001, v32
	v_lshl_add_u64 v[32:33], s[30:31], 0, v[104:105]
	v_lshl_add_u64 v[40:41], v[32:33], 0, v[86:87]
	global_load_dwordx4 v[32:35], v[40:41], off
	s_waitcnt vmcnt(0)
	v_lshlrev_b32_e32 v36, 16, v32
	v_and_b32_e32 v32, 0xffff0000, v32
	v_lshlrev_b32_e32 v37, 16, v33
	v_and_b32_e32 v33, 0xffff0000, v33
	;; [unrolled: 2-line block ×4, first 2 shown]
	v_cvt_pk_f16_f32 v44, v36, v32
	v_cvt_pk_f16_f32 v45, v37, v33
	;; [unrolled: 1-line block ×4, first 2 shown]
	scratch_load_dwordx4 v[32:35], off, off
	scratch_load_dwordx4 v[36:39], off, off offset:64
	s_waitcnt vmcnt(1)
	v_pk_fma_f16 v32, v44, v42, v32
	v_pk_fma_f16 v33, v45, v42, v33
	;; [unrolled: 1-line block ×4, first 2 shown]
	scratch_store_dwordx4 off, v[32:35], off
	global_load_dwordx4 v[32:35], v[40:41], off offset:128
	s_waitcnt vmcnt(2)
	v_pk_fma_f16 v36, v44, v43, v36
	v_pk_fma_f16 v37, v45, v43, v37
	v_pk_fma_f16 v38, v46, v43, v38
	v_pk_fma_f16 v39, v47, v43, v39
	scratch_store_dwordx4 off, v[36:39], off offset:64
	s_waitcnt vmcnt(1)
	s_nop 0
	v_lshlrev_b32_e32 v36, 16, v32
	v_and_b32_e32 v32, 0xffff0000, v32
	v_lshlrev_b32_e32 v37, 16, v33
	v_and_b32_e32 v33, 0xffff0000, v33
	v_lshlrev_b32_e32 v38, 16, v34
	v_and_b32_e32 v34, 0xffff0000, v34
	v_lshlrev_b32_e32 v39, 16, v35
	v_and_b32_e32 v35, 0xffff0000, v35
	v_cvt_pk_f16_f32 v44, v36, v32
	v_cvt_pk_f16_f32 v45, v37, v33
	v_cvt_pk_f16_f32 v46, v38, v34
	v_cvt_pk_f16_f32 v47, v39, v35
	scratch_load_dwordx4 v[32:35], off, off offset:16
	scratch_load_dwordx4 v[36:39], off, off offset:80
	s_waitcnt vmcnt(1)
	v_pk_fma_f16 v32, v44, v42, v32
	v_pk_fma_f16 v33, v45, v42, v33
	v_pk_fma_f16 v34, v46, v42, v34
	v_pk_fma_f16 v35, v47, v42, v35
	scratch_store_dwordx4 off, v[32:35], off offset:16
	global_load_dwordx4 v[32:35], v[40:41], off offset:256
	s_waitcnt vmcnt(2)
	v_pk_fma_f16 v36, v44, v43, v36
	v_pk_fma_f16 v37, v45, v43, v37
	v_pk_fma_f16 v38, v46, v43, v38
	v_pk_fma_f16 v39, v47, v43, v39
	scratch_store_dwordx4 off, v[36:39], off offset:80
	s_waitcnt vmcnt(1)
	s_nop 0
	v_lshlrev_b32_e32 v36, 16, v32
	v_and_b32_e32 v32, 0xffff0000, v32
	v_lshlrev_b32_e32 v37, 16, v33
	v_and_b32_e32 v33, 0xffff0000, v33
	v_lshlrev_b32_e32 v38, 16, v34
	v_and_b32_e32 v34, 0xffff0000, v34
	v_lshlrev_b32_e32 v39, 16, v35
	v_and_b32_e32 v35, 0xffff0000, v35
	v_cvt_pk_f16_f32 v44, v36, v32
	v_cvt_pk_f16_f32 v45, v37, v33
	v_cvt_pk_f16_f32 v46, v38, v34
	v_cvt_pk_f16_f32 v47, v39, v35
	scratch_load_dwordx4 v[32:35], off, off offset:32
	scratch_load_dwordx4 v[36:39], off, off offset:96
	s_waitcnt vmcnt(1)
	v_pk_fma_f16 v32, v44, v42, v32
	v_pk_fma_f16 v33, v45, v42, v33
	v_pk_fma_f16 v34, v46, v42, v34
	v_pk_fma_f16 v35, v47, v42, v35
	scratch_store_dwordx4 off, v[32:35], off offset:32
	;; [unrolled: 29-line block ×3, first 2 shown]
	ds_read_u16 v32, v134 offset:32
	s_waitcnt vmcnt(1)
	v_pk_fma_f16 v36, v40, v43, v36
	v_pk_fma_f16 v37, v41, v43, v37
	;; [unrolled: 1-line block ×4, first 2 shown]
	s_waitcnt lgkmcnt(0)
	v_mul_u32_u24_e32 v42, 0x10001, v32
	ds_read_u16 v32, v134 offset:288
	scratch_store_dwordx4 off, v[36:39], off offset:112
	s_waitcnt lgkmcnt(0)
	v_mul_u32_u24_e32 v43, 0x10001, v32
	v_lshl_add_u64 v[32:33], s[30:31], 0, v[106:107]
	v_lshl_add_u64 v[40:41], v[32:33], 0, v[86:87]
	global_load_dwordx4 v[32:35], v[40:41], off
	s_waitcnt vmcnt(0)
	v_lshlrev_b32_e32 v36, 16, v32
	v_and_b32_e32 v32, 0xffff0000, v32
	v_lshlrev_b32_e32 v37, 16, v33
	v_and_b32_e32 v33, 0xffff0000, v33
	;; [unrolled: 2-line block ×4, first 2 shown]
	v_cvt_pk_f16_f32 v44, v36, v32
	v_cvt_pk_f16_f32 v45, v37, v33
	;; [unrolled: 1-line block ×4, first 2 shown]
	scratch_load_dwordx4 v[32:35], off, off
	scratch_load_dwordx4 v[36:39], off, off offset:64
	s_waitcnt vmcnt(1)
	v_pk_fma_f16 v32, v44, v42, v32
	v_pk_fma_f16 v33, v45, v42, v33
	;; [unrolled: 1-line block ×4, first 2 shown]
	scratch_store_dwordx4 off, v[32:35], off
	global_load_dwordx4 v[32:35], v[40:41], off offset:128
	s_waitcnt vmcnt(2)
	v_pk_fma_f16 v36, v44, v43, v36
	v_pk_fma_f16 v37, v45, v43, v37
	v_pk_fma_f16 v38, v46, v43, v38
	v_pk_fma_f16 v39, v47, v43, v39
	scratch_store_dwordx4 off, v[36:39], off offset:64
	s_waitcnt vmcnt(1)
	s_nop 0
	v_lshlrev_b32_e32 v36, 16, v32
	v_and_b32_e32 v32, 0xffff0000, v32
	v_lshlrev_b32_e32 v37, 16, v33
	v_and_b32_e32 v33, 0xffff0000, v33
	v_lshlrev_b32_e32 v38, 16, v34
	v_and_b32_e32 v34, 0xffff0000, v34
	v_lshlrev_b32_e32 v39, 16, v35
	v_and_b32_e32 v35, 0xffff0000, v35
	v_cvt_pk_f16_f32 v44, v36, v32
	v_cvt_pk_f16_f32 v45, v37, v33
	v_cvt_pk_f16_f32 v46, v38, v34
	v_cvt_pk_f16_f32 v47, v39, v35
	scratch_load_dwordx4 v[32:35], off, off offset:16
	scratch_load_dwordx4 v[36:39], off, off offset:80
	s_waitcnt vmcnt(1)
	v_pk_fma_f16 v32, v44, v42, v32
	v_pk_fma_f16 v33, v45, v42, v33
	v_pk_fma_f16 v34, v46, v42, v34
	v_pk_fma_f16 v35, v47, v42, v35
	scratch_store_dwordx4 off, v[32:35], off offset:16
	global_load_dwordx4 v[32:35], v[40:41], off offset:256
	s_waitcnt vmcnt(2)
	v_pk_fma_f16 v36, v44, v43, v36
	v_pk_fma_f16 v37, v45, v43, v37
	v_pk_fma_f16 v38, v46, v43, v38
	v_pk_fma_f16 v39, v47, v43, v39
	scratch_store_dwordx4 off, v[36:39], off offset:80
	s_waitcnt vmcnt(1)
	s_nop 0
	v_lshlrev_b32_e32 v36, 16, v32
	v_and_b32_e32 v32, 0xffff0000, v32
	v_lshlrev_b32_e32 v37, 16, v33
	v_and_b32_e32 v33, 0xffff0000, v33
	v_lshlrev_b32_e32 v38, 16, v34
	v_and_b32_e32 v34, 0xffff0000, v34
	v_lshlrev_b32_e32 v39, 16, v35
	v_and_b32_e32 v35, 0xffff0000, v35
	v_cvt_pk_f16_f32 v44, v36, v32
	v_cvt_pk_f16_f32 v45, v37, v33
	v_cvt_pk_f16_f32 v46, v38, v34
	v_cvt_pk_f16_f32 v47, v39, v35
	scratch_load_dwordx4 v[32:35], off, off offset:32
	scratch_load_dwordx4 v[36:39], off, off offset:96
	s_waitcnt vmcnt(1)
	v_pk_fma_f16 v32, v44, v42, v32
	v_pk_fma_f16 v33, v45, v42, v33
	v_pk_fma_f16 v34, v46, v42, v34
	v_pk_fma_f16 v35, v47, v42, v35
	scratch_store_dwordx4 off, v[32:35], off offset:32
	;; [unrolled: 29-line block ×3, first 2 shown]
	ds_read_u16 v32, v135 offset:40
	s_waitcnt vmcnt(1)
	v_pk_fma_f16 v36, v40, v43, v36
	v_pk_fma_f16 v37, v41, v43, v37
	;; [unrolled: 1-line block ×4, first 2 shown]
	s_waitcnt lgkmcnt(0)
	v_mul_u32_u24_e32 v34, 0x10001, v32
	ds_read_u16 v32, v135 offset:296
	scratch_store_dwordx4 off, v[36:39], off offset:112
	s_waitcnt lgkmcnt(0)
	v_mul_u32_u24_e32 v35, 0x10001, v32
	v_lshl_add_u64 v[32:33], s[30:31], 0, v[108:109]
	v_lshl_add_u64 v[32:33], v[32:33], 0, v[86:87]
	global_load_dwordx4 v[36:39], v[32:33], off
	s_waitcnt vmcnt(0)
	v_lshlrev_b32_e32 v40, 16, v36
	v_and_b32_e32 v36, 0xffff0000, v36
	v_lshlrev_b32_e32 v41, 16, v37
	v_and_b32_e32 v37, 0xffff0000, v37
	;; [unrolled: 2-line block ×4, first 2 shown]
	v_cvt_pk_f16_f32 v44, v40, v36
	v_cvt_pk_f16_f32 v45, v41, v37
	;; [unrolled: 1-line block ×4, first 2 shown]
	scratch_load_dwordx4 v[36:39], off, off
	scratch_load_dwordx4 v[40:43], off, off offset:64
	s_waitcnt vmcnt(1)
	v_pk_fma_f16 v36, v44, v34, v36
	v_pk_fma_f16 v37, v45, v34, v37
	;; [unrolled: 1-line block ×4, first 2 shown]
	scratch_store_dwordx4 off, v[36:39], off
	global_load_dwordx4 v[36:39], v[32:33], off offset:128
	s_waitcnt vmcnt(2)
	v_pk_fma_f16 v40, v44, v35, v40
	v_pk_fma_f16 v41, v45, v35, v41
	;; [unrolled: 1-line block ×4, first 2 shown]
	scratch_store_dwordx4 off, v[40:43], off offset:64
	s_waitcnt vmcnt(1)
	s_nop 0
	v_lshlrev_b32_e32 v40, 16, v36
	v_and_b32_e32 v36, 0xffff0000, v36
	v_lshlrev_b32_e32 v41, 16, v37
	v_and_b32_e32 v37, 0xffff0000, v37
	;; [unrolled: 2-line block ×4, first 2 shown]
	v_cvt_pk_f16_f32 v44, v40, v36
	v_cvt_pk_f16_f32 v45, v41, v37
	;; [unrolled: 1-line block ×4, first 2 shown]
	scratch_load_dwordx4 v[36:39], off, off offset:16
	scratch_load_dwordx4 v[40:43], off, off offset:80
	s_waitcnt vmcnt(1)
	v_pk_fma_f16 v36, v44, v34, v36
	v_pk_fma_f16 v37, v45, v34, v37
	;; [unrolled: 1-line block ×4, first 2 shown]
	scratch_store_dwordx4 off, v[36:39], off offset:16
	global_load_dwordx4 v[36:39], v[32:33], off offset:256
	s_waitcnt vmcnt(2)
	v_pk_fma_f16 v40, v44, v35, v40
	v_pk_fma_f16 v41, v45, v35, v41
	;; [unrolled: 1-line block ×4, first 2 shown]
	scratch_store_dwordx4 off, v[40:43], off offset:80
	s_waitcnt vmcnt(1)
	s_nop 0
	v_lshlrev_b32_e32 v40, 16, v36
	v_and_b32_e32 v36, 0xffff0000, v36
	v_lshlrev_b32_e32 v41, 16, v37
	v_and_b32_e32 v37, 0xffff0000, v37
	;; [unrolled: 2-line block ×4, first 2 shown]
	v_cvt_pk_f16_f32 v44, v40, v36
	v_cvt_pk_f16_f32 v45, v41, v37
	v_cvt_pk_f16_f32 v46, v42, v38
	v_cvt_pk_f16_f32 v47, v43, v39
	scratch_load_dwordx4 v[36:39], off, off offset:32
	scratch_load_dwordx4 v[40:43], off, off offset:96
	s_waitcnt vmcnt(1)
	v_pk_fma_f16 v36, v44, v34, v36
	v_pk_fma_f16 v37, v45, v34, v37
	;; [unrolled: 1-line block ×4, first 2 shown]
	scratch_store_dwordx4 off, v[36:39], off offset:32
	global_load_dwordx4 v[36:39], v[32:33], off offset:384
	s_waitcnt vmcnt(2)
	v_pk_fma_f16 v40, v44, v35, v40
	v_pk_fma_f16 v41, v45, v35, v41
	;; [unrolled: 1-line block ×4, first 2 shown]
	scratch_store_dwordx4 off, v[40:43], off offset:96
	s_waitcnt vmcnt(1)
	v_lshlrev_b32_e32 v32, 16, v36
	v_and_b32_e32 v33, 0xffff0000, v36
	v_lshlrev_b32_e32 v36, 16, v37
	v_and_b32_e32 v37, 0xffff0000, v37
	;; [unrolled: 2-line block ×4, first 2 shown]
	v_cvt_pk_f16_f32 v32, v32, v33
	v_cvt_pk_f16_f32 v33, v36, v37
	;; [unrolled: 1-line block ×4, first 2 shown]
	scratch_load_dwordx4 v[36:39], off, off offset:48
	scratch_load_dwordx4 v[40:43], off, off offset:112
	s_waitcnt vmcnt(1)
	v_pk_fma_f16 v36, v32, v34, v36
	s_waitcnt vmcnt(0)
	v_pk_fma_f16 v40, v32, v35, v40
	ds_read_u16 v32, v135 offset:48
	v_pk_fma_f16 v37, v33, v34, v37
	v_pk_fma_f16 v38, v44, v34, v38
	;; [unrolled: 1-line block ×4, first 2 shown]
	s_waitcnt lgkmcnt(0)
	v_mul_u32_u24_e32 v34, 0x10001, v32
	ds_read_u16 v32, v135 offset:304
	v_pk_fma_f16 v42, v44, v35, v42
	v_pk_fma_f16 v43, v45, v35, v43
	scratch_store_dwordx4 off, v[36:39], off offset:48
	scratch_store_dwordx4 off, v[40:43], off offset:112
	s_waitcnt lgkmcnt(0)
	v_mul_u32_u24_e32 v35, 0x10001, v32
	v_lshl_add_u64 v[32:33], s[30:31], 0, v[110:111]
	v_lshl_add_u64 v[32:33], v[32:33], 0, v[86:87]
	global_load_dwordx4 v[36:39], v[32:33], off
	s_waitcnt vmcnt(0)
	v_lshlrev_b32_e32 v40, 16, v36
	v_and_b32_e32 v36, 0xffff0000, v36
	v_lshlrev_b32_e32 v41, 16, v37
	v_and_b32_e32 v37, 0xffff0000, v37
	;; [unrolled: 2-line block ×4, first 2 shown]
	v_cvt_pk_f16_f32 v44, v40, v36
	v_cvt_pk_f16_f32 v45, v41, v37
	;; [unrolled: 1-line block ×4, first 2 shown]
	scratch_load_dwordx4 v[36:39], off, off
	scratch_load_dwordx4 v[40:43], off, off offset:64
	s_waitcnt vmcnt(1)
	v_pk_fma_f16 v36, v44, v34, v36
	v_pk_fma_f16 v37, v45, v34, v37
	;; [unrolled: 1-line block ×4, first 2 shown]
	scratch_store_dwordx4 off, v[36:39], off
	global_load_dwordx4 v[36:39], v[32:33], off offset:128
	s_waitcnt vmcnt(2)
	v_pk_fma_f16 v40, v44, v35, v40
	v_pk_fma_f16 v41, v45, v35, v41
	;; [unrolled: 1-line block ×4, first 2 shown]
	scratch_store_dwordx4 off, v[40:43], off offset:64
	s_waitcnt vmcnt(1)
	s_nop 0
	v_lshlrev_b32_e32 v40, 16, v36
	v_and_b32_e32 v36, 0xffff0000, v36
	v_lshlrev_b32_e32 v41, 16, v37
	v_and_b32_e32 v37, 0xffff0000, v37
	;; [unrolled: 2-line block ×4, first 2 shown]
	v_cvt_pk_f16_f32 v44, v40, v36
	v_cvt_pk_f16_f32 v45, v41, v37
	;; [unrolled: 1-line block ×4, first 2 shown]
	scratch_load_dwordx4 v[36:39], off, off offset:16
	scratch_load_dwordx4 v[40:43], off, off offset:80
	s_waitcnt vmcnt(1)
	v_pk_fma_f16 v36, v44, v34, v36
	v_pk_fma_f16 v37, v45, v34, v37
	;; [unrolled: 1-line block ×4, first 2 shown]
	scratch_store_dwordx4 off, v[36:39], off offset:16
	global_load_dwordx4 v[36:39], v[32:33], off offset:256
	s_waitcnt vmcnt(2)
	v_pk_fma_f16 v40, v44, v35, v40
	v_pk_fma_f16 v41, v45, v35, v41
	;; [unrolled: 1-line block ×4, first 2 shown]
	scratch_store_dwordx4 off, v[40:43], off offset:80
	s_waitcnt vmcnt(1)
	s_nop 0
	v_lshlrev_b32_e32 v40, 16, v36
	v_and_b32_e32 v36, 0xffff0000, v36
	v_lshlrev_b32_e32 v41, 16, v37
	v_and_b32_e32 v37, 0xffff0000, v37
	;; [unrolled: 2-line block ×4, first 2 shown]
	v_cvt_pk_f16_f32 v44, v40, v36
	v_cvt_pk_f16_f32 v45, v41, v37
	;; [unrolled: 1-line block ×4, first 2 shown]
	scratch_load_dwordx4 v[36:39], off, off offset:32
	scratch_load_dwordx4 v[40:43], off, off offset:96
	s_waitcnt vmcnt(1)
	v_pk_fma_f16 v36, v44, v34, v36
	v_pk_fma_f16 v37, v45, v34, v37
	;; [unrolled: 1-line block ×4, first 2 shown]
	scratch_store_dwordx4 off, v[36:39], off offset:32
	global_load_dwordx4 v[36:39], v[32:33], off offset:384
	s_waitcnt vmcnt(2)
	v_pk_fma_f16 v40, v44, v35, v40
	v_pk_fma_f16 v41, v45, v35, v41
	;; [unrolled: 1-line block ×4, first 2 shown]
	scratch_store_dwordx4 off, v[40:43], off offset:96
	s_waitcnt vmcnt(1)
	v_lshlrev_b32_e32 v32, 16, v36
	v_and_b32_e32 v33, 0xffff0000, v36
	v_lshlrev_b32_e32 v36, 16, v37
	v_and_b32_e32 v37, 0xffff0000, v37
	v_lshlrev_b32_e32 v40, 16, v38
	v_and_b32_e32 v38, 0xffff0000, v38
	v_lshlrev_b32_e32 v41, 16, v39
	v_and_b32_e32 v39, 0xffff0000, v39
	v_cvt_pk_f16_f32 v32, v32, v33
	v_cvt_pk_f16_f32 v33, v36, v37
	;; [unrolled: 1-line block ×4, first 2 shown]
	scratch_load_dwordx4 v[36:39], off, off offset:48
	scratch_load_dwordx4 v[40:43], off, off offset:112
	s_waitcnt vmcnt(1)
	v_pk_fma_f16 v36, v32, v34, v36
	s_waitcnt vmcnt(0)
	v_pk_fma_f16 v40, v32, v35, v40
	ds_read_u16 v32, v135 offset:56
	v_pk_fma_f16 v37, v33, v34, v37
	v_pk_fma_f16 v38, v44, v34, v38
	;; [unrolled: 1-line block ×4, first 2 shown]
	s_waitcnt lgkmcnt(0)
	v_mul_u32_u24_e32 v34, 0x10001, v32
	ds_read_u16 v32, v135 offset:312
	v_pk_fma_f16 v42, v44, v35, v42
	v_pk_fma_f16 v43, v45, v35, v43
	scratch_store_dwordx4 off, v[36:39], off offset:48
	scratch_store_dwordx4 off, v[40:43], off offset:112
	s_waitcnt lgkmcnt(0)
	v_mul_u32_u24_e32 v35, 0x10001, v32
	v_lshl_add_u64 v[32:33], s[30:31], 0, v[112:113]
	v_lshl_add_u64 v[32:33], v[32:33], 0, v[86:87]
	global_load_dwordx4 v[36:39], v[32:33], off
	s_add_u32 s30, s30, s25
	s_addc_u32 s31, s31, 0
	s_lshl_b64 s[12:13], s[26:27], 1
	s_add_u32 s28, s28, s12
	s_addc_u32 s29, s29, s13
	s_cmp_ge_i32 s24, s21
	s_waitcnt vmcnt(0)
	v_lshlrev_b32_e32 v40, 16, v36
	v_and_b32_e32 v36, 0xffff0000, v36
	v_lshlrev_b32_e32 v41, 16, v37
	v_and_b32_e32 v37, 0xffff0000, v37
	;; [unrolled: 2-line block ×4, first 2 shown]
	v_cvt_pk_f16_f32 v44, v40, v36
	v_cvt_pk_f16_f32 v45, v41, v37
	;; [unrolled: 1-line block ×4, first 2 shown]
	scratch_load_dwordx4 v[36:39], off, off
	scratch_load_dwordx4 v[40:43], off, off offset:64
	s_waitcnt vmcnt(1)
	v_pk_fma_f16 v36, v44, v34, v36
	v_pk_fma_f16 v37, v45, v34, v37
	;; [unrolled: 1-line block ×4, first 2 shown]
	scratch_store_dwordx4 off, v[36:39], off
	global_load_dwordx4 v[36:39], v[32:33], off offset:128
	s_waitcnt vmcnt(2)
	v_pk_fma_f16 v40, v44, v35, v40
	v_pk_fma_f16 v41, v45, v35, v41
	v_pk_fma_f16 v42, v46, v35, v42
	v_pk_fma_f16 v43, v47, v35, v43
	scratch_store_dwordx4 off, v[40:43], off offset:64
	s_waitcnt vmcnt(1)
	s_nop 0
	v_lshlrev_b32_e32 v40, 16, v36
	v_and_b32_e32 v36, 0xffff0000, v36
	v_lshlrev_b32_e32 v41, 16, v37
	v_and_b32_e32 v37, 0xffff0000, v37
	;; [unrolled: 2-line block ×4, first 2 shown]
	v_cvt_pk_f16_f32 v44, v40, v36
	v_cvt_pk_f16_f32 v45, v41, v37
	;; [unrolled: 1-line block ×4, first 2 shown]
	scratch_load_dwordx4 v[36:39], off, off offset:16
	scratch_load_dwordx4 v[40:43], off, off offset:80
	s_waitcnt vmcnt(1)
	v_pk_fma_f16 v36, v44, v34, v36
	v_pk_fma_f16 v37, v45, v34, v37
	;; [unrolled: 1-line block ×4, first 2 shown]
	scratch_store_dwordx4 off, v[36:39], off offset:16
	global_load_dwordx4 v[36:39], v[32:33], off offset:256
	s_waitcnt vmcnt(2)
	v_pk_fma_f16 v40, v44, v35, v40
	v_pk_fma_f16 v41, v45, v35, v41
	;; [unrolled: 1-line block ×4, first 2 shown]
	scratch_store_dwordx4 off, v[40:43], off offset:80
	s_waitcnt vmcnt(1)
	v_lshlrev_b32_e32 v44, 16, v39
	v_lshlrev_b32_e32 v40, 16, v36
	v_and_b32_e32 v36, 0xffff0000, v36
	v_lshlrev_b32_e32 v41, 16, v37
	v_and_b32_e32 v37, 0xffff0000, v37
	v_lshlrev_b32_e32 v42, 16, v38
	v_and_b32_e32 v43, 0xffff0000, v38
	v_and_b32_e32 v45, 0xffff0000, v39
	v_cvt_pk_f16_f32 v39, v40, v36
	v_cvt_pk_f16_f32 v38, v41, v37
	;; [unrolled: 1-line block ×4, first 2 shown]
	scratch_load_dwordx4 v[40:43], off, off offset:32
	scratch_load_dwordx4 v[44:47], off, off offset:96
	s_waitcnt vmcnt(1)
	v_pk_fma_f16 v40, v39, v34, v40
	s_waitcnt vmcnt(0)
	v_pk_fma_f16 v44, v39, v35, v44
	v_pk_fma_f16 v41, v38, v34, v41
	;; [unrolled: 1-line block ×7, first 2 shown]
	global_load_dwordx4 v[36:39], v[32:33], off offset:384
	s_waitcnt vmcnt(0)
	v_lshlrev_b32_e32 v32, 16, v36
	scratch_store_dwordx4 off, v[40:43], off offset:32
	v_and_b32_e32 v33, 0xffff0000, v36
	v_lshlrev_b32_e32 v36, 16, v37
	v_and_b32_e32 v37, 0xffff0000, v37
	v_lshlrev_b32_e32 v40, 16, v38
	;; [unrolled: 2-line block ×3, first 2 shown]
	v_and_b32_e32 v39, 0xffff0000, v39
	scratch_store_dwordx4 off, v[44:47], off offset:96
	v_cvt_pk_f16_f32 v32, v32, v33
	v_cvt_pk_f16_f32 v33, v36, v37
	;; [unrolled: 1-line block ×4, first 2 shown]
	scratch_load_dwordx4 v[36:39], off, off offset:48
	scratch_load_dwordx4 v[40:43], off, off offset:112
	s_waitcnt vmcnt(1)
	v_pk_fma_f16 v36, v32, v34, v36
	s_waitcnt vmcnt(0)
	v_pk_fma_f16 v40, v32, v35, v40
	v_pk_fma_f16 v37, v33, v34, v37
	;; [unrolled: 1-line block ×7, first 2 shown]
	scratch_store_dwordx4 off, v[36:39], off offset:48
	scratch_store_dwordx4 off, v[40:43], off offset:112
	s_cbranch_scc1 .LBB31_72
; %bb.70:                               ;   in Loop: Header=BB31_21 Depth=1
	v_mov_b32_e32 v34, v118
	v_mov_b32_e32 v37, v119
	s_branch .LBB31_21
.LBB31_71:
	v_mov_b32_e32 v118, 0xfeffffff
	v_mov_b32_e32 v48, 0
	;; [unrolled: 1-line block ×4, first 2 shown]
.LBB31_72:
	s_cmp_eq_u64 s[44:45], 0
	s_cselect_b64 s[4:5], -1, 0
	s_cmp_lg_u32 s3, 0
	s_cselect_b64 s[6:7], -1, 0
	s_or_b64 s[4:5], s[6:7], s[4:5]
	s_nor_b64 s[4:5], s[4:5], s[16:17]
	s_and_saveexec_b64 s[8:9], s[4:5]
	s_cbranch_execz .LBB31_74
; %bb.73:
	v_lshlrev_b32_e32 v16, 6, v125
	scratch_load_dwordx4 v[0:3], v16, off
	scratch_load_dwordx4 v[4:7], v16, off offset:16
	scratch_load_dwordx4 v[8:11], v16, off offset:32
	scratch_load_dwordx4 v[12:15], v16, off offset:48
	s_ashr_i32 s21, s20, 31
	s_lshl_b64 s[4:5], s[20:21], 2
	s_add_u32 s4, s44, s4
	s_addc_u32 s5, s45, s5
	s_load_dword s4, s[4:5], 0x0
	v_cmp_eq_u32_e32 vcc, 1, v125
	s_mov_b32 s2, 0x3fb8aa3b
	s_mov_b32 s10, 0xc2ce8ed0
	v_cndmask_b32_e32 v17, v118, v119, vcc
	v_max_f32_e32 v19, v17, v17
	s_waitcnt lgkmcnt(0)
	v_max_f32_e64 v21, s4, s4
	v_max_f32_e32 v19, v21, v19
	v_sub_f32_e32 v17, v17, v19
	v_sub_f32_e32 v21, s4, v19
	v_mul_f32_e32 v22, 0x3fb8aa3b, v17
	v_mul_f32_e32 v23, 0x3fb8aa3b, v21
	v_fma_f32 v24, v17, s2, -v22
	v_rndne_f32_e32 v25, v22
	v_fma_f32 v26, v21, s2, -v23
	v_rndne_f32_e32 v27, v23
	v_fmac_f32_e32 v24, 0x32a5705f, v17
	v_sub_f32_e32 v22, v22, v25
	v_fmac_f32_e32 v26, 0x32a5705f, v21
	v_sub_f32_e32 v23, v23, v27
	v_add_f32_e32 v22, v22, v24
	v_cvt_i32_f32_e32 v25, v25
	v_add_f32_e32 v23, v23, v26
	v_exp_f32_e32 v22, v22
	v_cvt_i32_f32_e32 v27, v27
	v_exp_f32_e32 v23, v23
	v_cmp_eq_u32_e64 s[4:5], 0, v125
	v_cndmask_b32_e32 v119, v119, v19, vcc
	v_cmp_ngt_f32_e64 s[6:7], s10, v17
	v_cndmask_b32_e64 v118, v118, v19, s[4:5]
	v_ldexp_f32 v19, v22, v25
	s_mov_b32 s11, 0x42b17218
	v_ldexp_f32 v22, v23, v27
	v_cndmask_b32_e64 v19, 0, v19, s[6:7]
	v_cmp_ngt_f32_e64 s[6:7], s10, v21
	v_mov_b32_e32 v18, 0x7f800000
	v_cndmask_b32_e32 v20, v48, v49, vcc
	v_cndmask_b32_e64 v22, 0, v22, s[6:7]
	v_cmp_nlt_f32_e64 s[6:7], s11, v17
	s_nop 1
	v_cndmask_b32_e64 v17, v18, v19, s[6:7]
	v_cvt_f16_f32_e32 v19, v17
	v_cmp_nlt_f32_e64 s[6:7], s11, v21
	s_nop 1
	v_cndmask_b32_e64 v18, v18, v22, s[6:7]
	v_cmp_eq_u32_e64 s[6:7], 0, v122
	s_nop 1
	v_cndmask_b32_e64 v18, 0, v18, s[6:7]
	v_fmac_f32_e32 v18, v20, v17
	v_mul_u32_u24_e32 v17, 0x10001, v19
	v_cndmask_b32_e32 v49, v49, v18, vcc
	v_cndmask_b32_e64 v48, v48, v18, s[4:5]
	s_waitcnt vmcnt(3)
	v_pk_mul_f16 v0, v0, v17
	v_pk_mul_f16 v1, v1, v17
	v_pk_mul_f16 v2, v2, v17
	v_pk_mul_f16 v3, v3, v17
	s_waitcnt vmcnt(2)
	v_pk_mul_f16 v4, v4, v17
	v_pk_mul_f16 v5, v5, v17
	v_pk_mul_f16 v6, v6, v17
	v_pk_mul_f16 v7, v7, v17
	;; [unrolled: 5-line block ×4, first 2 shown]
	scratch_store_dwordx4 v16, v[0:3], off
	scratch_store_dwordx4 v16, v[4:7], off offset:16
	scratch_store_dwordx4 v16, v[8:11], off offset:32
	;; [unrolled: 1-line block ×3, first 2 shown]
.LBB31_74:
	s_or_b64 exec, exec, s[8:9]
	v_cmp_eq_u32_e32 vcc, 0, v125
	v_add_u32_e32 v2, 0x2100, v126
	v_or_b32_e32 v8, 0x2000, v126
	s_and_saveexec_b64 s[4:5], vcc
	s_cbranch_execz .LBB31_76
; %bb.75:
	v_mov_b32_e32 v0, 0xfeffffff
	v_mov_b32_e32 v1, 0
	ds_write2_b32 v8, v0, v0 offset1:32
	ds_write2_b32 v2, v1, v1 offset1:32
.LBB31_76:
	s_or_b64 exec, exec, s[4:5]
	v_cmp_eq_u32_e64 s[4:5], 0, v122
	s_waitcnt lgkmcnt(0)
	s_barrier
	s_and_saveexec_b64 s[6:7], s[4:5]
; %bb.77:
	v_lshlrev_b32_e32 v0, 2, v125
	v_add_u32_e32 v0, 0x2000, v0
	ds_write2_b32 v0, v118, v119 offset1:32
; %bb.78:
	s_or_b64 exec, exec, s[6:7]
	s_cmp_lt_i32 s22, s18
	s_waitcnt lgkmcnt(0)
	s_barrier
	s_cbranch_scc1 .LBB31_80
; %bb.79:
	s_add_u32 s6, s0, 0xd0
	s_addc_u32 s7, s1, 0
	s_mul_i32 s2, s33, s18
	s_cbranch_execz .LBB31_81
	s_branch .LBB31_88
.LBB31_80:
                                        ; implicit-def: $sgpr6_sgpr7
	s_mul_i32 s2, s33, s18
.LBB31_81:
	v_mbcnt_hi_u32_b32 v1, -1, v128
	ds_read_b32 v5, v8
	v_and_b32_e32 v3, 0x60, v1
	scratch_load_dwordx4 v[12:15], off, off
	scratch_load_dwordx4 v[16:19], off, off offset:16
	scratch_load_dwordx4 v[20:23], off, off offset:32
	;; [unrolled: 1-line block ×3, first 2 shown]
	v_xor_b32_e32 v4, 16, v1
	v_add_u32_e32 v7, 32, v3
	v_cmp_lt_i32_e32 vcc, v4, v7
	v_xor_b32_e32 v6, 8, v1
	v_xor_b32_e32 v29, 1, v1
	v_cndmask_b32_e32 v3, v1, v4, vcc
	v_lshlrev_b32_e32 v3, 2, v3
	s_waitcnt lgkmcnt(0)
	ds_bpermute_b32 v9, v3, v5
	v_cmp_lt_i32_e32 vcc, v6, v7
	v_max_f32_e32 v5, v5, v5
	v_mov_b32_e32 v0, 0x2100
	v_cndmask_b32_e32 v4, v1, v6, vcc
	s_waitcnt lgkmcnt(0)
	v_max_f32_e32 v6, v9, v9
	v_lshlrev_b32_e32 v4, 2, v4
	v_max_f32_e32 v6, v5, v6
	ds_bpermute_b32 v9, v4, v6
	v_xor_b32_e32 v5, 4, v1
	v_cmp_lt_i32_e32 vcc, v5, v7
	s_add_u32 s6, s0, 0xd0
	s_load_dword s10, s[0:1], 0xd4
	v_cndmask_b32_e32 v5, v1, v5, vcc
	s_waitcnt lgkmcnt(0)
	v_max_f32_e32 v9, v9, v9
	v_lshlrev_b32_e32 v5, 2, v5
	v_max_f32_e32 v9, v6, v9
	ds_bpermute_b32 v28, v5, v9
	v_xor_b32_e32 v6, 2, v1
	v_cmp_lt_i32_e32 vcc, v6, v7
	s_mov_b32 s0, 0x3fb8aa3b
	s_mov_b32 s9, 0xc2ce8ed0
	v_cndmask_b32_e32 v6, v1, v6, vcc
	s_waitcnt lgkmcnt(0)
	v_max_f32_e32 v28, v28, v28
	v_lshlrev_b32_e32 v6, 2, v6
	v_max_f32_e32 v9, v9, v28
	ds_bpermute_b32 v28, v6, v9
	v_cmp_lt_i32_e32 vcc, v29, v7
	v_lshlrev_b32_e32 v11, 6, v122
	s_mov_b32 s11, 0x42b17218
	v_cndmask_b32_e32 v1, v1, v29, vcc
	v_lshlrev_b32_e32 v7, 2, v1
	s_waitcnt lgkmcnt(0)
	v_max_f32_e32 v1, v28, v28
	v_max_f32_e32 v1, v9, v1
	ds_bpermute_b32 v28, v7, v1
	v_lshl_add_u32 v9, v125, 2, v0
	v_mov_b32_e32 v29, 0x7f800000
	v_and_b32_e32 v11, 0x1e00, v11
	v_lshlrev_b32_e32 v10, 4, v122
	s_waitcnt lgkmcnt(0)
	v_max_f32_e32 v0, v28, v28
	v_max_f32_e32 v0, v1, v0
	v_sub_f32_e32 v1, v118, v0
	v_mul_f32_e32 v28, 0x3fb8aa3b, v1
	v_fma_f32 v30, v1, s0, -v28
	v_rndne_f32_e32 v31, v28
	v_fmamk_f32 v30, v1, 0x32a5705f, v30
	v_sub_f32_e32 v28, v28, v31
	v_add_f32_e32 v28, v28, v30
	v_cvt_i32_f32_e32 v31, v31
	v_exp_f32_e32 v28, v28
	v_cmp_ngt_f32_e32 vcc, s9, v1
	s_movk_i32 s8, 0x70
	v_lshl_add_u32 v11, v125, 11, v11
	v_ldexp_f32 v28, v28, v31
	v_cndmask_b32_e32 v28, 0, v28, vcc
	v_cmp_nlt_f32_e32 vcc, s11, v1
	v_and_or_b32 v10, v10, s8, v11
	s_addc_u32 s7, s1, 0
	v_cndmask_b32_e32 v1, v29, v28, vcc
	v_mul_f32_e32 v11, v48, v1
	ds_bpermute_b32 v11, v3, v11
	v_cvt_f16_f32_e32 v28, v1
	s_waitcnt lgkmcnt(0)
	v_fmac_f32_e32 v11, v48, v1
	ds_bpermute_b32 v1, v4, v11
	v_mul_u32_u24_e32 v28, 0x10001, v28
	s_waitcnt vmcnt(3)
	v_pk_mul_f16 v12, v12, v28
	v_pk_mul_f16 v13, v13, v28
	s_waitcnt lgkmcnt(0)
	v_add_f32_e32 v1, v11, v1
	ds_bpermute_b32 v11, v5, v1
	v_pk_mul_f16 v14, v14, v28
	v_pk_mul_f16 v15, v15, v28
	s_waitcnt vmcnt(2)
	v_pk_mul_f16 v16, v16, v28
	v_pk_mul_f16 v17, v17, v28
	s_waitcnt lgkmcnt(0)
	v_add_f32_e32 v1, v1, v11
	ds_bpermute_b32 v11, v6, v1
	v_pk_mul_f16 v18, v18, v28
	v_pk_mul_f16 v19, v19, v28
	;; [unrolled: 8-line block ×3, first 2 shown]
	s_waitcnt vmcnt(0)
	v_pk_mul_f16 v24, v24, v28
	v_pk_mul_f16 v25, v25, v28
	;; [unrolled: 1-line block ×4, first 2 shown]
	scratch_store_dwordx4 off, v[12:15], off
	scratch_store_dwordx4 off, v[16:19], off offset:16
	scratch_store_dwordx4 off, v[20:23], off offset:32
	;; [unrolled: 1-line block ×3, first 2 shown]
	ds_write_b128 v10, v[12:15]
	ds_write_b128 v10, v[16:19] offset:128
	ds_write_b128 v10, v[20:23] offset:256
	;; [unrolled: 1-line block ×3, first 2 shown]
	s_and_saveexec_b64 s[0:1], s[4:5]
	s_cbranch_execz .LBB31_83
; %bb.82:
	s_waitcnt lgkmcnt(4)
	v_add_f32_e32 v1, v1, v11
	ds_write_b32 v9, v1
.LBB31_83:
	s_or_b64 exec, exec, s[0:1]
	s_waitcnt lgkmcnt(0)
	s_barrier
	ds_read_b32 v1, v2
	ds_read_u16 v11, v124
	ds_read_u16 v13, v124 offset:1280
	ds_read_u16 v14, v124 offset:768
	;; [unrolled: 1-line block ×3, first 2 shown]
	s_waitcnt lgkmcnt(4)
	ds_bpermute_b32 v12, v3, v1
	ds_read_u16 v16, v124 offset:512
	ds_read_u16 v17, v124 offset:1024
	;; [unrolled: 1-line block ×3, first 2 shown]
	s_waitcnt lgkmcnt(7)
	v_cvt_f32_f16_e32 v11, v11
	s_waitcnt lgkmcnt(5)
	v_cvt_f32_f16_e32 v14, v14
	s_waitcnt lgkmcnt(2)
	v_cvt_f32_f16_e32 v16, v16
	v_add_f32_e32 v1, v1, v12
	ds_bpermute_b32 v12, v4, v1
	s_waitcnt lgkmcnt(2)
	v_cvt_f32_f16_e32 v17, v17
	s_waitcnt lgkmcnt(1)
	v_cvt_f32_f16_e32 v18, v18
	v_add_f32_e32 v11, 0, v11
	v_add_f32_e32 v11, v11, v16
	s_waitcnt lgkmcnt(0)
	v_add_f32_e32 v1, v1, v12
	ds_bpermute_b32 v12, v5, v1
	v_add_f32_e32 v11, v11, v17
	v_add_f32_e32 v11, v11, v18
	v_cvt_f32_f16_e32 v15, v15
	v_cvt_f32_f16_e32 v13, v13
	s_waitcnt lgkmcnt(0)
	v_add_f32_e32 v1, v1, v12
	ds_bpermute_b32 v12, v6, v1
	s_cmp_eq_u32 s10, 1
	v_add_f32_e32 v15, 0, v15
	v_add_f32_e32 v14, v15, v14
	;; [unrolled: 1-line block ×3, first 2 shown]
	s_waitcnt lgkmcnt(0)
	v_add_f32_e32 v1, v1, v12
	ds_bpermute_b32 v12, v7, v1
	s_waitcnt lgkmcnt(0)
	v_add_f32_e32 v48, v1, v12
	ds_read_u16 v1, v124 offset:2048
	ds_read_u16 v12, v124 offset:2560
	ds_read_u16 v16, v124 offset:3072
	ds_read_u16 v17, v124 offset:3584
	ds_read_u16 v18, v124 offset:3328
	ds_read_u16 v19, v124 offset:2816
	ds_read_u16 v20, v124 offset:2304
	ds_read_u16 v21, v124 offset:1792
	s_waitcnt lgkmcnt(7)
	v_cvt_f32_f16_e32 v1, v1
	s_waitcnt lgkmcnt(6)
	v_cvt_f32_f16_e32 v12, v12
	s_waitcnt lgkmcnt(5)
	v_cvt_f32_f16_e32 v16, v16
	s_waitcnt lgkmcnt(4)
	v_cvt_f32_f16_e32 v17, v17
	v_add_f32_e32 v1, v11, v1
	v_add_f32_e32 v1, v1, v12
	v_add_f32_e32 v1, v1, v16
	v_add_f32_e32 v1, v1, v17
	ds_read_u16 v11, v124 offset:4096
	ds_read_u16 v12, v124 offset:4608
	ds_read_u16 v16, v124 offset:5120
	ds_read_u16 v17, v124 offset:5632
	ds_read_u16 v22, v124 offset:5376
	ds_read_u16 v23, v124 offset:4864
	ds_read_u16 v24, v124 offset:4352
	ds_read_u16 v25, v124 offset:3840
	s_waitcnt lgkmcnt(7)
	v_cvt_f32_f16_e32 v11, v11
	s_waitcnt lgkmcnt(6)
	v_cvt_f32_f16_e32 v12, v12
	s_waitcnt lgkmcnt(5)
	v_cvt_f32_f16_e32 v16, v16
	s_waitcnt lgkmcnt(4)
	v_cvt_f32_f16_e32 v17, v17
	v_add_f32_e32 v1, v1, v11
	v_add_f32_e32 v1, v1, v12
	v_add_f32_e32 v1, v1, v16
	v_add_f32_e32 v1, v1, v17
	ds_read_u16 v11, v124 offset:6144
	ds_read_u16 v12, v124 offset:6656
	ds_read_u16 v16, v124 offset:7168
	ds_read_u16 v17, v124 offset:7680
	ds_read_u16 v26, v124 offset:7424
	ds_read_u16 v27, v124 offset:6912
	ds_read_u16 v28, v124 offset:6400
	ds_read_u16 v29, v124 offset:5888
	s_waitcnt lgkmcnt(7)
	v_cvt_f32_f16_e32 v11, v11
	s_waitcnt lgkmcnt(6)
	v_cvt_f32_f16_e32 v12, v12
	s_waitcnt lgkmcnt(5)
	v_cvt_f32_f16_e32 v16, v16
	s_waitcnt lgkmcnt(4)
	v_cvt_f32_f16_e32 v17, v17
	v_add_f32_e32 v1, v1, v11
	v_add_f32_e32 v1, v1, v12
	v_add_f32_e32 v1, v1, v16
	v_add_f32_e32 v11, v1, v17
	v_div_scale_f32 v1, s[0:1], v48, v48, v11
	v_rcp_f32_e32 v12, v1
	s_cselect_b64 s[0:1], -1, 0
	v_cvt_f32_f16_e32 v14, v20
	v_cvt_f32_f16_e32 v15, v19
	v_fma_f32 v16, -v1, v12, 1.0
	v_fmac_f32_e32 v12, v16, v12
	v_div_scale_f32 v16, vcc, v11, v48, v11
	v_mul_f32_e32 v17, v16, v12
	v_fma_f32 v30, -v1, v17, v16
	v_fmac_f32_e32 v17, v30, v12
	v_fma_f32 v1, -v1, v17, v16
	v_div_fmas_f32 v1, v1, v12, v17
	v_div_fixup_f32 v16, v1, v48, v11
	v_cndmask_b32_e64 v11, v11, v16, s[0:1]
	v_cvt_f32_f16_e32 v16, v21
	s_waitcnt lgkmcnt(3)
	v_cvt_f32_f16_e32 v17, v26
	s_add_i32 s8, s2, s22
	s_mul_i32 s11, s8, s19
	v_add_f32_e32 v13, v13, v16
	v_cvt_f32_f16_e32 v16, v18
	v_add_f32_e32 v13, v13, v14
	v_cvt_f32_f16_e32 v14, v25
	;; [unrolled: 2-line block ×3, first 2 shown]
	v_add_f32_e32 v13, v13, v16
	v_add_f32_e32 v13, v13, v14
	v_cvt_f32_f16_e32 v14, v23
	v_cvt_f32_f16_e32 v16, v22
	v_add_f32_e32 v13, v13, v15
	s_waitcnt lgkmcnt(0)
	v_cvt_f32_f16_e32 v15, v29
	v_add_f32_e32 v13, v13, v14
	ds_read_u16 v14, v124 offset:7936
	v_add_f32_e32 v13, v13, v16
	v_add_f32_e32 v13, v13, v15
	v_cvt_f32_f16_e32 v15, v28
	v_cvt_f32_f16_e32 v16, v27
	s_waitcnt lgkmcnt(0)
	v_cvt_f32_f16_e32 v14, v14
	s_add_i32 s11, s11, s20
	v_add_f32_e32 v13, v13, v15
	v_add_f32_e32 v13, v13, v16
	s_mul_i32 s8, s10, s11
	v_add_f32_e32 v13, v13, v17
	s_add_i32 s8, s8, s3
	v_add_f32_e32 v14, v13, v14
	v_lshl_or_b32 v12, s8, 8, v123
	v_div_scale_f32 v15, s[8:9], v48, v48, v14
	v_rcp_f32_e32 v16, v15
	v_mov_b32_e32 v13, 0
	v_lshl_add_u64 v[12:13], v[12:13], 2, s[48:49]
	global_store_dword v[12:13], v11, off
	v_fma_f32 v11, -v15, v16, 1.0
	v_fmac_f32_e32 v16, v11, v16
	v_div_scale_f32 v11, vcc, v14, v48, v14
	v_mul_f32_e32 v17, v11, v16
	v_fma_f32 v18, -v15, v17, v11
	v_fmac_f32_e32 v17, v18, v16
	v_fma_f32 v11, -v15, v17, v11
	v_div_fmas_f32 v11, v11, v16, v17
	v_div_fixup_f32 v11, v11, v48, v14
	s_or_b32 s8, s22, 1
	v_mov_b32_e32 v1, v119
	v_cndmask_b32_e64 v11, v14, v11, s[0:1]
	s_cmp_ge_i32 s8, s18
	global_store_dword v[12:13], v11, off offset:512
	s_barrier
	s_cbranch_scc1 .LBB31_87
; %bb.84:
	ds_read_b32 v1, v8 offset:128
	scratch_load_dwordx4 v[12:15], off, off offset:64
	scratch_load_dwordx4 v[16:19], off, off offset:80
	;; [unrolled: 1-line block ×4, first 2 shown]
	s_mov_b32 s8, 0x3fb8aa3b
	s_waitcnt lgkmcnt(0)
	ds_bpermute_b32 v8, v3, v1
	v_max_f32_e32 v1, v1, v1
	s_mov_b32 s9, 0x42b17218
	v_or_b32_e32 v30, 0x100, v10
	v_or_b32_e32 v31, 0x180, v10
	s_waitcnt lgkmcnt(0)
	v_max_f32_e32 v8, v8, v8
	v_max_f32_e32 v1, v1, v8
	ds_bpermute_b32 v8, v4, v1
	s_waitcnt lgkmcnt(0)
	v_max_f32_e32 v8, v8, v8
	v_max_f32_e32 v1, v1, v8
	ds_bpermute_b32 v8, v5, v1
	;; [unrolled: 4-line block ×4, first 2 shown]
	s_waitcnt lgkmcnt(0)
	v_max_f32_e32 v8, v8, v8
	v_max_f32_e32 v1, v1, v8
	v_sub_f32_e32 v8, v119, v1
	v_mul_f32_e32 v11, 0x3fb8aa3b, v8
	v_fma_f32 v28, v8, s8, -v11
	v_rndne_f32_e32 v29, v11
	v_fmamk_f32 v28, v8, 0x32a5705f, v28
	v_sub_f32_e32 v11, v11, v29
	v_add_f32_e32 v11, v11, v28
	v_cvt_i32_f32_e32 v29, v29
	v_exp_f32_e32 v11, v11
	s_mov_b32 s8, 0xc2ce8ed0
	v_cmp_ngt_f32_e32 vcc, s8, v8
	v_mov_b32_e32 v28, 0x7f800000
	v_ldexp_f32 v11, v11, v29
	v_cndmask_b32_e32 v11, 0, v11, vcc
	v_cmp_nlt_f32_e32 vcc, s9, v8
	v_or_b32_e32 v29, 0x80, v10
	s_nop 0
	v_cndmask_b32_e32 v8, v28, v11, vcc
	v_mul_f32_e32 v11, v49, v8
	ds_bpermute_b32 v11, v3, v11
	s_waitcnt lgkmcnt(0)
	v_fmac_f32_e32 v11, v49, v8
	ds_bpermute_b32 v28, v4, v11
	v_cvt_f16_f32_e32 v8, v8
	s_waitcnt lgkmcnt(0)
	v_add_f32_e32 v11, v11, v28
	ds_bpermute_b32 v28, v5, v11
	v_mul_u32_u24_e32 v32, 0x10001, v8
	s_waitcnt lgkmcnt(0)
	v_add_f32_e32 v11, v11, v28
	ds_bpermute_b32 v28, v6, v11
	s_waitcnt vmcnt(2)
	v_pk_mul_f16 v16, v16, v32
	s_waitcnt lgkmcnt(0)
	v_add_f32_e32 v8, v11, v28
	ds_bpermute_b32 v11, v7, v8
	v_pk_mul_f16 v12, v12, v32
	v_pk_mul_f16 v13, v13, v32
	;; [unrolled: 1-line block ×7, first 2 shown]
	s_waitcnt vmcnt(1)
	v_pk_mul_f16 v20, v20, v32
	v_pk_mul_f16 v21, v21, v32
	;; [unrolled: 1-line block ×4, first 2 shown]
	s_waitcnt vmcnt(0)
	v_pk_mul_f16 v24, v24, v32
	v_pk_mul_f16 v25, v25, v32
	;; [unrolled: 1-line block ×4, first 2 shown]
	scratch_store_dwordx4 off, v[12:15], off offset:64
	scratch_store_dwordx4 off, v[16:19], off offset:80
	;; [unrolled: 1-line block ×4, first 2 shown]
	ds_write_b128 v10, v[12:15]
	ds_write_b128 v29, v[16:19]
	ds_write_b128 v30, v[20:23]
	ds_write_b128 v31, v[24:27]
	s_and_saveexec_b64 s[8:9], s[4:5]
	s_cbranch_execz .LBB31_86
; %bb.85:
	s_waitcnt lgkmcnt(4)
	v_add_f32_e32 v8, v8, v11
	ds_write_b32 v9, v8 offset:128
.LBB31_86:
	s_or_b64 exec, exec, s[8:9]
	s_waitcnt lgkmcnt(0)
	s_barrier
	ds_read_b32 v2, v2 offset:128
	ds_read_u16 v8, v124
	ds_read_u16 v9, v124 offset:1280
	ds_read_u16 v10, v124 offset:768
	;; [unrolled: 1-line block ×3, first 2 shown]
	s_waitcnt lgkmcnt(4)
	ds_bpermute_b32 v3, v3, v2
	s_add_i32 s11, s11, s19
	s_waitcnt lgkmcnt(0)
	v_add_f32_e32 v2, v2, v3
	ds_bpermute_b32 v3, v4, v2
	s_waitcnt lgkmcnt(0)
	v_add_f32_e32 v2, v2, v3
	ds_bpermute_b32 v3, v5, v2
	ds_read_u16 v4, v124 offset:512
	ds_read_u16 v5, v124 offset:1024
	;; [unrolled: 1-line block ×3, first 2 shown]
	s_waitcnt lgkmcnt(2)
	v_cvt_f32_f16_e32 v4, v4
	v_add_f32_e32 v2, v2, v3
	ds_bpermute_b32 v3, v6, v2
	v_cvt_f32_f16_e32 v6, v8
	s_waitcnt lgkmcnt(2)
	v_cvt_f32_f16_e32 v5, v5
	s_waitcnt lgkmcnt(1)
	;; [unrolled: 2-line block ×3, first 2 shown]
	v_add_f32_e32 v2, v2, v3
	ds_bpermute_b32 v3, v7, v2
	v_add_f32_e32 v6, 0, v6
	v_add_f32_e32 v4, v6, v4
	;; [unrolled: 1-line block ×4, first 2 shown]
	s_waitcnt lgkmcnt(0)
	v_add_f32_e32 v49, v2, v3
	ds_read_u16 v2, v124 offset:2048
	ds_read_u16 v3, v124 offset:2560
	ds_read_u16 v5, v124 offset:3072
	ds_read_u16 v6, v124 offset:3584
	ds_read_u16 v7, v124 offset:3328
	ds_read_u16 v8, v124 offset:2816
	ds_read_u16 v12, v124 offset:2304
	ds_read_u16 v13, v124 offset:1792
	s_waitcnt lgkmcnt(7)
	v_cvt_f32_f16_e32 v2, v2
	s_waitcnt lgkmcnt(6)
	v_cvt_f32_f16_e32 v3, v3
	s_waitcnt lgkmcnt(5)
	v_cvt_f32_f16_e32 v5, v5
	s_waitcnt lgkmcnt(4)
	v_cvt_f32_f16_e32 v6, v6
	v_add_f32_e32 v2, v4, v2
	v_add_f32_e32 v2, v2, v3
	v_add_f32_e32 v2, v2, v5
	v_add_f32_e32 v2, v2, v6
	ds_read_u16 v3, v124 offset:4096
	ds_read_u16 v4, v124 offset:4608
	ds_read_u16 v5, v124 offset:5120
	ds_read_u16 v6, v124 offset:5632
	ds_read_u16 v14, v124 offset:5376
	ds_read_u16 v15, v124 offset:4864
	ds_read_u16 v16, v124 offset:4352
	ds_read_u16 v17, v124 offset:3840
	s_waitcnt lgkmcnt(7)
	v_cvt_f32_f16_e32 v3, v3
	s_waitcnt lgkmcnt(6)
	v_cvt_f32_f16_e32 v4, v4
	s_waitcnt lgkmcnt(5)
	v_cvt_f32_f16_e32 v5, v5
	s_waitcnt lgkmcnt(4)
	v_cvt_f32_f16_e32 v6, v6
	v_add_f32_e32 v2, v2, v3
	v_add_f32_e32 v2, v2, v4
	v_add_f32_e32 v2, v2, v5
	;; [unrolled: 20-line block ×3, first 2 shown]
	v_add_f32_e32 v3, v2, v6
	v_div_scale_f32 v4, s[4:5], v49, v49, v3
	v_rcp_f32_e32 v5, v4
	v_cvt_f32_f16_e32 v7, v7
	s_mul_i32 s4, s10, s11
	s_add_i32 s4, s4, s3
	v_fma_f32 v6, -v4, v5, 1.0
	v_fmac_f32_e32 v5, v6, v5
	v_div_scale_f32 v6, vcc, v3, v49, v3
	v_mul_f32_e32 v22, v6, v5
	v_fma_f32 v23, -v4, v22, v6
	v_fmac_f32_e32 v22, v23, v5
	v_fma_f32 v4, -v4, v22, v6
	v_div_fmas_f32 v4, v4, v5, v22
	v_div_fixup_f32 v4, v4, v49, v3
	v_cvt_f32_f16_e32 v5, v11
	v_cndmask_b32_e64 v4, v3, v4, s[0:1]
	v_cvt_f32_f16_e32 v3, v10
	v_cvt_f32_f16_e32 v6, v9
	v_add_f32_e32 v5, 0, v5
	v_cvt_f32_f16_e32 v9, v13
	v_add_f32_e32 v3, v5, v3
	;; [unrolled: 2-line block ×4, first 2 shown]
	v_add_f32_e32 v3, v3, v5
	v_cvt_f32_f16_e32 v5, v17
	v_add_f32_e32 v3, v3, v6
	v_cvt_f32_f16_e32 v6, v16
	v_add_f32_e32 v3, v3, v7
	v_add_f32_e32 v3, v3, v5
	v_cvt_f32_f16_e32 v5, v15
	v_cvt_f32_f16_e32 v7, v14
	v_add_f32_e32 v3, v3, v6
	s_waitcnt lgkmcnt(0)
	v_cvt_f32_f16_e32 v6, v21
	v_add_f32_e32 v3, v3, v5
	ds_read_u16 v5, v124 offset:7936
	v_add_f32_e32 v3, v3, v7
	v_add_f32_e32 v3, v3, v6
	v_cvt_f32_f16_e32 v6, v20
	v_cvt_f32_f16_e32 v7, v19
	;; [unrolled: 1-line block ×3, first 2 shown]
	s_waitcnt lgkmcnt(0)
	v_cvt_f32_f16_e32 v5, v5
	v_add_f32_e32 v3, v3, v6
	v_add_f32_e32 v3, v3, v7
	;; [unrolled: 1-line block ×4, first 2 shown]
	v_lshl_or_b32 v2, s4, 8, v123
	v_div_scale_f32 v6, s[4:5], v49, v49, v5
	v_rcp_f32_e32 v7, v6
	v_mov_b32_e32 v3, 0
	v_lshl_add_u64 v[2:3], v[2:3], 2, s[48:49]
	global_store_dword v[2:3], v4, off
	v_fma_f32 v4, -v6, v7, 1.0
	v_fmac_f32_e32 v7, v4, v7
	v_div_scale_f32 v4, vcc, v5, v49, v5
	v_mul_f32_e32 v8, v4, v7
	v_fma_f32 v9, -v6, v8, v4
	v_fmac_f32_e32 v8, v9, v7
	v_fma_f32 v4, -v6, v8, v4
	v_div_fmas_f32 v4, v4, v7, v8
	v_div_fixup_f32 v4, v4, v49, v5
	v_cndmask_b32_e64 v4, v5, v4, s[0:1]
	global_store_dword v[2:3], v4, off offset:512
.LBB31_87:
	v_mov_b64_e32 v[118:119], v[0:1]
.LBB31_88:
	s_load_dword s0, s[6:7], 0x4
	v_cmp_gt_u32_e32 vcc, 2, v123
	v_or_b32_e32 v0, s22, v122
	s_waitcnt lgkmcnt(0)
	s_cmp_lg_u32 s0, 1
	s_cselect_b64 s[4:5], -1, 0
	s_and_b64 s[4:5], s[4:5], vcc
	v_cmp_gt_i32_e32 vcc, s18, v0
	s_and_b64 s[4:5], s[4:5], vcc
	s_and_saveexec_b64 s[6:7], s[4:5]
	s_cbranch_execz .LBB31_90
; %bb.89:
	v_add_u32_e32 v0, s2, v0
	v_mul_lo_u32 v0, v0, s19
	v_add_u32_e32 v0, s20, v0
	v_mul_lo_u32 v0, s0, v0
	v_mov_b32_e32 v2, s50
	v_mov_b32_e32 v3, s51
	v_cmp_eq_u32_e32 vcc, 1, v123
	v_add_u32_e32 v0, s3, v0
	v_mov_b32_e32 v1, 0
	v_cndmask_b32_e32 v4, v118, v119, vcc
	v_cndmask_b32_e32 v5, v48, v49, vcc
	v_lshl_add_u64 v[0:1], v[0:1], 3, v[2:3]
	global_store_dwordx2 v[0:1], v[4:5], off
.LBB31_90:
	s_endpgm
	.section	.rodata,"a",@progbits
	.p2align	6, 0x0
	.amdhsa_kernel _ZL18flash_attn_ext_vecILi256ELi2EL9ggml_type3ELS0_30ELb1EEvPKcS2_S2_S2_S2_PKiPfP15HIP_vector_typeIfLj2EEffffjfiS6_IjLj3EEiiiiiiiiiiiliiliiiiil
		.amdhsa_group_segment_fixed_size 8704
		.amdhsa_private_segment_fixed_size 144
		.amdhsa_kernarg_size 464
		.amdhsa_user_sgpr_count 2
		.amdhsa_user_sgpr_dispatch_ptr 0
		.amdhsa_user_sgpr_queue_ptr 0
		.amdhsa_user_sgpr_kernarg_segment_ptr 1
		.amdhsa_user_sgpr_dispatch_id 0
		.amdhsa_user_sgpr_kernarg_preload_length 0
		.amdhsa_user_sgpr_kernarg_preload_offset 0
		.amdhsa_user_sgpr_private_segment_size 0
		.amdhsa_uses_dynamic_stack 0
		.amdhsa_enable_private_segment 1
		.amdhsa_system_sgpr_workgroup_id_x 1
		.amdhsa_system_sgpr_workgroup_id_y 1
		.amdhsa_system_sgpr_workgroup_id_z 1
		.amdhsa_system_sgpr_workgroup_info 0
		.amdhsa_system_vgpr_workitem_id 1
		.amdhsa_next_free_vgpr 166
		.amdhsa_next_free_sgpr 60
		.amdhsa_accum_offset 168
		.amdhsa_reserve_vcc 1
		.amdhsa_float_round_mode_32 0
		.amdhsa_float_round_mode_16_64 0
		.amdhsa_float_denorm_mode_32 3
		.amdhsa_float_denorm_mode_16_64 3
		.amdhsa_dx10_clamp 1
		.amdhsa_ieee_mode 1
		.amdhsa_fp16_overflow 0
		.amdhsa_tg_split 0
		.amdhsa_exception_fp_ieee_invalid_op 0
		.amdhsa_exception_fp_denorm_src 0
		.amdhsa_exception_fp_ieee_div_zero 0
		.amdhsa_exception_fp_ieee_overflow 0
		.amdhsa_exception_fp_ieee_underflow 0
		.amdhsa_exception_fp_ieee_inexact 0
		.amdhsa_exception_int_div_zero 0
	.end_amdhsa_kernel
	.section	.text._ZL18flash_attn_ext_vecILi256ELi2EL9ggml_type3ELS0_30ELb1EEvPKcS2_S2_S2_S2_PKiPfP15HIP_vector_typeIfLj2EEffffjfiS6_IjLj3EEiiiiiiiiiiiliiliiiiil,"axG",@progbits,_ZL18flash_attn_ext_vecILi256ELi2EL9ggml_type3ELS0_30ELb1EEvPKcS2_S2_S2_S2_PKiPfP15HIP_vector_typeIfLj2EEffffjfiS6_IjLj3EEiiiiiiiiiiiliiliiiiil,comdat
.Lfunc_end31:
	.size	_ZL18flash_attn_ext_vecILi256ELi2EL9ggml_type3ELS0_30ELb1EEvPKcS2_S2_S2_S2_PKiPfP15HIP_vector_typeIfLj2EEffffjfiS6_IjLj3EEiiiiiiiiiiiliiliiiiil, .Lfunc_end31-_ZL18flash_attn_ext_vecILi256ELi2EL9ggml_type3ELS0_30ELb1EEvPKcS2_S2_S2_S2_PKiPfP15HIP_vector_typeIfLj2EEffffjfiS6_IjLj3EEiiiiiiiiiiiliiliiiiil
                                        ; -- End function
	.set _ZL18flash_attn_ext_vecILi256ELi2EL9ggml_type3ELS0_30ELb1EEvPKcS2_S2_S2_S2_PKiPfP15HIP_vector_typeIfLj2EEffffjfiS6_IjLj3EEiiiiiiiiiiiliiliiiiil.num_vgpr, 166
	.set _ZL18flash_attn_ext_vecILi256ELi2EL9ggml_type3ELS0_30ELb1EEvPKcS2_S2_S2_S2_PKiPfP15HIP_vector_typeIfLj2EEffffjfiS6_IjLj3EEiiiiiiiiiiiliiliiiiil.num_agpr, 0
	.set _ZL18flash_attn_ext_vecILi256ELi2EL9ggml_type3ELS0_30ELb1EEvPKcS2_S2_S2_S2_PKiPfP15HIP_vector_typeIfLj2EEffffjfiS6_IjLj3EEiiiiiiiiiiiliiliiiiil.numbered_sgpr, 60
	.set _ZL18flash_attn_ext_vecILi256ELi2EL9ggml_type3ELS0_30ELb1EEvPKcS2_S2_S2_S2_PKiPfP15HIP_vector_typeIfLj2EEffffjfiS6_IjLj3EEiiiiiiiiiiiliiliiiiil.num_named_barrier, 0
	.set _ZL18flash_attn_ext_vecILi256ELi2EL9ggml_type3ELS0_30ELb1EEvPKcS2_S2_S2_S2_PKiPfP15HIP_vector_typeIfLj2EEffffjfiS6_IjLj3EEiiiiiiiiiiiliiliiiiil.private_seg_size, 144
	.set _ZL18flash_attn_ext_vecILi256ELi2EL9ggml_type3ELS0_30ELb1EEvPKcS2_S2_S2_S2_PKiPfP15HIP_vector_typeIfLj2EEffffjfiS6_IjLj3EEiiiiiiiiiiiliiliiiiil.uses_vcc, 1
	.set _ZL18flash_attn_ext_vecILi256ELi2EL9ggml_type3ELS0_30ELb1EEvPKcS2_S2_S2_S2_PKiPfP15HIP_vector_typeIfLj2EEffffjfiS6_IjLj3EEiiiiiiiiiiiliiliiiiil.uses_flat_scratch, 0
	.set _ZL18flash_attn_ext_vecILi256ELi2EL9ggml_type3ELS0_30ELb1EEvPKcS2_S2_S2_S2_PKiPfP15HIP_vector_typeIfLj2EEffffjfiS6_IjLj3EEiiiiiiiiiiiliiliiiiil.has_dyn_sized_stack, 0
	.set _ZL18flash_attn_ext_vecILi256ELi2EL9ggml_type3ELS0_30ELb1EEvPKcS2_S2_S2_S2_PKiPfP15HIP_vector_typeIfLj2EEffffjfiS6_IjLj3EEiiiiiiiiiiiliiliiiiil.has_recursion, 0
	.set _ZL18flash_attn_ext_vecILi256ELi2EL9ggml_type3ELS0_30ELb1EEvPKcS2_S2_S2_S2_PKiPfP15HIP_vector_typeIfLj2EEffffjfiS6_IjLj3EEiiiiiiiiiiiliiliiiiil.has_indirect_call, 0
	.section	.AMDGPU.csdata,"",@progbits
; Kernel info:
; codeLenInByte = 24208
; TotalNumSgprs: 66
; NumVgprs: 166
; NumAgprs: 0
; TotalNumVgprs: 166
; ScratchSize: 144
; MemoryBound: 0
; FloatMode: 240
; IeeeMode: 1
; LDSByteSize: 8704 bytes/workgroup (compile time only)
; SGPRBlocks: 8
; VGPRBlocks: 20
; NumSGPRsForWavesPerEU: 66
; NumVGPRsForWavesPerEU: 166
; AccumOffset: 168
; Occupancy: 3
; WaveLimiterHint : 0
; COMPUTE_PGM_RSRC2:SCRATCH_EN: 1
; COMPUTE_PGM_RSRC2:USER_SGPR: 2
; COMPUTE_PGM_RSRC2:TRAP_HANDLER: 0
; COMPUTE_PGM_RSRC2:TGID_X_EN: 1
; COMPUTE_PGM_RSRC2:TGID_Y_EN: 1
; COMPUTE_PGM_RSRC2:TGID_Z_EN: 1
; COMPUTE_PGM_RSRC2:TIDIG_COMP_CNT: 1
; COMPUTE_PGM_RSRC3_GFX90A:ACCUM_OFFSET: 41
; COMPUTE_PGM_RSRC3_GFX90A:TG_SPLIT: 0
	.text
	.p2alignl 6, 3212836864
	.fill 256, 4, 3212836864
	.section	.AMDGPU.gpr_maximums,"",@progbits
	.set amdgpu.max_num_vgpr, 52
	.set amdgpu.max_num_agpr, 0
	.set amdgpu.max_num_sgpr, 34
	.text
	.type	.str.3,@object                  ; @.str.3
	.section	.rodata.str1.1,"aMS",@progbits,1
.str.3:
	.asciz	"/root/src/amdgpu-assembly/repos/ggml-org__llama.cpp/ggml/src/ggml-cuda/template-instances/../fattn-vec.cuh"
	.size	.str.3, 107

	.type	__FUNCTION__._ZL18flash_attn_ext_vecILi64ELi1EL9ggml_type3ELS0_30ELb1EEvPKcS2_S2_S2_S2_PKiPfP15HIP_vector_typeIfLj2EEffffjfiS6_IjLj3EEiiiiiiiiiiiliiliiiiil,@object ; @__FUNCTION__._ZL18flash_attn_ext_vecILi64ELi1EL9ggml_type3ELS0_30ELb1EEvPKcS2_S2_S2_S2_PKiPfP15HIP_vector_typeIfLj2EEffffjfiS6_IjLj3EEiiiiiiiiiiiliiliiiiil
__FUNCTION__._ZL18flash_attn_ext_vecILi64ELi1EL9ggml_type3ELS0_30ELb1EEvPKcS2_S2_S2_S2_PKiPfP15HIP_vector_typeIfLj2EEffffjfiS6_IjLj3EEiiiiiiiiiiiliiliiiiil:
	.asciz	"flash_attn_ext_vec"
	.size	__FUNCTION__._ZL18flash_attn_ext_vecILi64ELi1EL9ggml_type3ELS0_30ELb1EEvPKcS2_S2_S2_S2_PKiPfP15HIP_vector_typeIfLj2EEffffjfiS6_IjLj3EEiiiiiiiiiiiliiliiiiil, 19

	.type	.str.5,@object                  ; @.str.5
.str.5:
	.asciz	"%s:%d: ERROR: HIP kernel %s has no device code compatible with HIP arch %d.\n"
	.size	.str.5, 77

	.type	__hip_cuid_e37c4fcac4b59b09,@object ; @__hip_cuid_e37c4fcac4b59b09
	.section	.bss,"aw",@nobits
	.globl	__hip_cuid_e37c4fcac4b59b09
__hip_cuid_e37c4fcac4b59b09:
	.byte	0                               ; 0x0
	.size	__hip_cuid_e37c4fcac4b59b09, 1

	.ident	"AMD clang version 22.0.0git (https://github.com/RadeonOpenCompute/llvm-project roc-7.2.4 26084 f58b06dce1f9c15707c5f808fd002e18c2accf7e)"
	.section	".note.GNU-stack","",@progbits
	.addrsig
	.addrsig_sym __hip_cuid_e37c4fcac4b59b09
	.amdgpu_metadata
---
amdhsa.kernels:
  - .agpr_count:     0
    .args:
      - .address_space:  global
        .offset:         0
        .size:           8
        .value_kind:     global_buffer
      - .address_space:  global
        .offset:         8
        .size:           8
        .value_kind:     global_buffer
      - .address_space:  global
        .offset:         16
        .size:           8
        .value_kind:     global_buffer
      - .address_space:  global
        .offset:         24
        .size:           8
        .value_kind:     global_buffer
      - .address_space:  global
        .offset:         32
        .size:           8
        .value_kind:     global_buffer
      - .address_space:  global
        .offset:         40
        .size:           8
        .value_kind:     global_buffer
      - .address_space:  global
        .offset:         48
        .size:           8
        .value_kind:     global_buffer
      - .address_space:  global
        .offset:         56
        .size:           8
        .value_kind:     global_buffer
      - .offset:         64
        .size:           4
        .value_kind:     by_value
      - .offset:         68
        .size:           4
        .value_kind:     by_value
      - .offset:         72
        .size:           4
        .value_kind:     by_value
      - .offset:         76
        .size:           4
        .value_kind:     by_value
      - .offset:         80
        .size:           4
        .value_kind:     by_value
      - .offset:         84
        .size:           4
        .value_kind:     by_value
      - .offset:         88
        .size:           4
        .value_kind:     by_value
      - .offset:         92
        .size:           12
        .value_kind:     by_value
      - .offset:         104
        .size:           4
        .value_kind:     by_value
      - .offset:         108
        .size:           4
        .value_kind:     by_value
      - .offset:         112
        .size:           4
        .value_kind:     by_value
      - .offset:         116
        .size:           4
        .value_kind:     by_value
      - .offset:         120
        .size:           4
        .value_kind:     by_value
      - .offset:         124
        .size:           4
        .value_kind:     by_value
      - .offset:         128
        .size:           4
        .value_kind:     by_value
      - .offset:         132
        .size:           4
        .value_kind:     by_value
      - .offset:         136
        .size:           4
        .value_kind:     by_value
      - .offset:         140
        .size:           4
        .value_kind:     by_value
      - .offset:         144
        .size:           4
        .value_kind:     by_value
      - .offset:         152
        .size:           8
        .value_kind:     by_value
      - .offset:         160
        .size:           4
        .value_kind:     by_value
      - .offset:         164
        .size:           4
        .value_kind:     by_value
      - .offset:         168
        .size:           8
        .value_kind:     by_value
      - .offset:         176
        .size:           4
        .value_kind:     by_value
      - .offset:         180
        .size:           4
        .value_kind:     by_value
      - .offset:         184
        .size:           4
        .value_kind:     by_value
      - .offset:         188
        .size:           4
        .value_kind:     by_value
      - .offset:         192
        .size:           4
        .value_kind:     by_value
      - .offset:         200
        .size:           8
        .value_kind:     by_value
      - .offset:         208
        .size:           4
        .value_kind:     hidden_block_count_x
      - .offset:         212
        .size:           4
        .value_kind:     hidden_block_count_y
      - .offset:         216
        .size:           4
        .value_kind:     hidden_block_count_z
      - .offset:         220
        .size:           2
        .value_kind:     hidden_group_size_x
      - .offset:         222
        .size:           2
        .value_kind:     hidden_group_size_y
      - .offset:         224
        .size:           2
        .value_kind:     hidden_group_size_z
      - .offset:         226
        .size:           2
        .value_kind:     hidden_remainder_x
      - .offset:         228
        .size:           2
        .value_kind:     hidden_remainder_y
      - .offset:         230
        .size:           2
        .value_kind:     hidden_remainder_z
      - .offset:         248
        .size:           8
        .value_kind:     hidden_global_offset_x
      - .offset:         256
        .size:           8
        .value_kind:     hidden_global_offset_y
      - .offset:         264
        .size:           8
        .value_kind:     hidden_global_offset_z
      - .offset:         272
        .size:           2
        .value_kind:     hidden_grid_dims
    .group_segment_fixed_size: 2304
    .kernarg_segment_align: 8
    .kernarg_segment_size: 464
    .language:       OpenCL C
    .language_version:
      - 2
      - 0
    .max_flat_workgroup_size: 128
    .name:           _ZL18flash_attn_ext_vecILi64ELi1EL9ggml_type3ELS0_30ELb0EEvPKcS2_S2_S2_S2_PKiPfP15HIP_vector_typeIfLj2EEffffjfiS6_IjLj3EEiiiiiiiiiiiliiliiiiil
    .private_segment_fixed_size: 0
    .sgpr_count:     73
    .sgpr_spill_count: 0
    .symbol:         _ZL18flash_attn_ext_vecILi64ELi1EL9ggml_type3ELS0_30ELb0EEvPKcS2_S2_S2_S2_PKiPfP15HIP_vector_typeIfLj2EEffffjfiS6_IjLj3EEiiiiiiiiiiiliiliiiiil.kd
    .uniform_work_group_size: 1
    .uses_dynamic_stack: false
    .vgpr_count:     97
    .vgpr_spill_count: 0
    .wavefront_size: 64
  - .agpr_count:     0
    .args:
      - .actual_access:  read_only
        .address_space:  global
        .offset:         0
        .size:           8
        .value_kind:     global_buffer
      - .actual_access:  write_only
        .address_space:  global
        .offset:         8
        .size:           8
        .value_kind:     global_buffer
      - .offset:         16
        .size:           4
        .value_kind:     by_value
      - .offset:         20
        .size:           4
        .value_kind:     by_value
      - .offset:         24
        .size:           4
        .value_kind:     by_value
      - .offset:         32
        .size:           4
        .value_kind:     hidden_block_count_x
      - .offset:         36
        .size:           4
        .value_kind:     hidden_block_count_y
      - .offset:         40
        .size:           4
        .value_kind:     hidden_block_count_z
      - .offset:         44
        .size:           2
        .value_kind:     hidden_group_size_x
      - .offset:         46
        .size:           2
        .value_kind:     hidden_group_size_y
      - .offset:         48
        .size:           2
        .value_kind:     hidden_group_size_z
      - .offset:         50
        .size:           2
        .value_kind:     hidden_remainder_x
      - .offset:         52
        .size:           2
        .value_kind:     hidden_remainder_y
      - .offset:         54
        .size:           2
        .value_kind:     hidden_remainder_z
      - .offset:         72
        .size:           8
        .value_kind:     hidden_global_offset_x
      - .offset:         80
        .size:           8
        .value_kind:     hidden_global_offset_y
      - .offset:         88
        .size:           8
        .value_kind:     hidden_global_offset_z
      - .offset:         96
        .size:           2
        .value_kind:     hidden_grid_dims
    .group_segment_fixed_size: 128
    .kernarg_segment_align: 8
    .kernarg_segment_size: 288
    .language:       OpenCL C
    .language_version:
      - 2
      - 0
    .max_flat_workgroup_size: 128
    .name:           _ZL25flash_attn_mask_to_KV_maxILi1EEvPK7__half2Piiii
    .private_segment_fixed_size: 0
    .sgpr_count:     26
    .sgpr_spill_count: 0
    .symbol:         _ZL25flash_attn_mask_to_KV_maxILi1EEvPK7__half2Piiii.kd
    .uniform_work_group_size: 1
    .uses_dynamic_stack: false
    .vgpr_count:     17
    .vgpr_spill_count: 0
    .wavefront_size: 64
  - .agpr_count:     0
    .args:
      - .address_space:  global
        .offset:         0
        .size:           8
        .value_kind:     global_buffer
      - .address_space:  global
        .offset:         8
        .size:           8
        .value_kind:     global_buffer
      - .offset:         16
        .size:           4
        .value_kind:     by_value
      - .offset:         20
        .size:           4
        .value_kind:     by_value
      - .offset:         24
        .size:           4
        .value_kind:     by_value
      - .offset:         28
        .size:           4
        .value_kind:     by_value
      - .offset:         32
        .size:           4
        .value_kind:     by_value
      - .offset:         36
        .size:           4
        .value_kind:     by_value
      - .offset:         40
        .size:           12
        .value_kind:     by_value
      - .offset:         52
        .size:           12
        .value_kind:     by_value
      - .offset:         64
        .size:           12
        .value_kind:     by_value
    .group_segment_fixed_size: 0
    .kernarg_segment_align: 8
    .kernarg_segment_size: 76
    .language:       OpenCL C
    .language_version:
      - 2
      - 0
    .max_flat_workgroup_size: 64
    .name:           _ZL33flash_attn_stream_k_fixup_uniformILi64ELi1ELi1EEvPfPK15HIP_vector_typeIfLj2EEiiiiiiS1_IjLj3EES5_S5_
    .private_segment_fixed_size: 0
    .sgpr_count:     26
    .sgpr_spill_count: 0
    .symbol:         _ZL33flash_attn_stream_k_fixup_uniformILi64ELi1ELi1EEvPfPK15HIP_vector_typeIfLj2EEiiiiiiS1_IjLj3EES5_S5_.kd
    .uniform_work_group_size: 1
    .uses_dynamic_stack: false
    .vgpr_count:     17
    .vgpr_spill_count: 0
    .wavefront_size: 64
  - .agpr_count:     0
    .args:
      - .address_space:  global
        .offset:         0
        .size:           8
        .value_kind:     global_buffer
      - .address_space:  global
        .offset:         8
        .size:           8
        .value_kind:     global_buffer
      - .offset:         16
        .size:           4
        .value_kind:     by_value
      - .offset:         20
        .size:           4
        .value_kind:     by_value
      - .offset:         24
        .size:           4
        .value_kind:     by_value
      - .offset:         28
        .size:           4
        .value_kind:     by_value
      - .offset:         32
        .size:           12
        .value_kind:     by_value
      - .offset:         44
        .size:           12
        .value_kind:     by_value
      - .offset:         56
        .size:           12
        .value_kind:     by_value
      - .offset:         68
        .size:           12
        .value_kind:     by_value
      - .offset:         80
        .size:           4
        .value_kind:     hidden_block_count_x
      - .offset:         84
        .size:           4
        .value_kind:     hidden_block_count_y
      - .offset:         88
        .size:           4
        .value_kind:     hidden_block_count_z
      - .offset:         92
        .size:           2
        .value_kind:     hidden_group_size_x
      - .offset:         94
        .size:           2
        .value_kind:     hidden_group_size_y
      - .offset:         96
        .size:           2
        .value_kind:     hidden_group_size_z
      - .offset:         98
        .size:           2
        .value_kind:     hidden_remainder_x
      - .offset:         100
        .size:           2
        .value_kind:     hidden_remainder_y
      - .offset:         102
        .size:           2
        .value_kind:     hidden_remainder_z
      - .offset:         120
        .size:           8
        .value_kind:     hidden_global_offset_x
      - .offset:         128
        .size:           8
        .value_kind:     hidden_global_offset_y
      - .offset:         136
        .size:           8
        .value_kind:     hidden_global_offset_z
      - .offset:         144
        .size:           2
        .value_kind:     hidden_grid_dims
    .group_segment_fixed_size: 0
    .kernarg_segment_align: 8
    .kernarg_segment_size: 336
    .language:       OpenCL C
    .language_version:
      - 2
      - 0
    .max_flat_workgroup_size: 64
    .name:           _ZL33flash_attn_stream_k_fixup_generalILi64ELi1ELi1EEvPfPK15HIP_vector_typeIfLj2EEiiiiS1_IjLj3EES5_S5_S5_
    .private_segment_fixed_size: 0
    .sgpr_count:     42
    .sgpr_spill_count: 0
    .symbol:         _ZL33flash_attn_stream_k_fixup_generalILi64ELi1ELi1EEvPfPK15HIP_vector_typeIfLj2EEiiiiS1_IjLj3EES5_S5_S5_.kd
    .uniform_work_group_size: 1
    .uses_dynamic_stack: false
    .vgpr_count:     18
    .vgpr_spill_count: 0
    .wavefront_size: 64
  - .agpr_count:     0
    .args:
      - .address_space:  global
        .offset:         0
        .size:           8
        .value_kind:     global_buffer
      - .address_space:  global
        .offset:         8
        .size:           8
        .value_kind:     global_buffer
      - .address_space:  global
        .offset:         16
        .size:           8
        .value_kind:     global_buffer
      - .offset:         24
        .size:           4
        .value_kind:     by_value
      - .offset:         32
        .size:           4
        .value_kind:     hidden_block_count_x
      - .offset:         36
        .size:           4
        .value_kind:     hidden_block_count_y
      - .offset:         40
        .size:           4
        .value_kind:     hidden_block_count_z
      - .offset:         44
        .size:           2
        .value_kind:     hidden_group_size_x
      - .offset:         46
        .size:           2
        .value_kind:     hidden_group_size_y
      - .offset:         48
        .size:           2
        .value_kind:     hidden_group_size_z
      - .offset:         50
        .size:           2
        .value_kind:     hidden_remainder_x
      - .offset:         52
        .size:           2
        .value_kind:     hidden_remainder_y
      - .offset:         54
        .size:           2
        .value_kind:     hidden_remainder_z
      - .offset:         72
        .size:           8
        .value_kind:     hidden_global_offset_x
      - .offset:         80
        .size:           8
        .value_kind:     hidden_global_offset_y
      - .offset:         88
        .size:           8
        .value_kind:     hidden_global_offset_z
      - .offset:         96
        .size:           2
        .value_kind:     hidden_grid_dims
      - .offset:         152
        .size:           4
        .value_kind:     hidden_dynamic_lds_size
    .group_segment_fixed_size: 0
    .kernarg_segment_align: 8
    .kernarg_segment_size: 288
    .language:       OpenCL C
    .language_version:
      - 2
      - 0
    .max_flat_workgroup_size: 64
    .name:           _ZL26flash_attn_combine_resultsILi64EEvPKfPK15HIP_vector_typeIfLj2EEPfi
    .private_segment_fixed_size: 0
    .sgpr_count:     32
    .sgpr_spill_count: 0
    .symbol:         _ZL26flash_attn_combine_resultsILi64EEvPKfPK15HIP_vector_typeIfLj2EEPfi.kd
    .uniform_work_group_size: 1
    .uses_dynamic_stack: false
    .vgpr_count:     59
    .vgpr_spill_count: 0
    .wavefront_size: 64
  - .agpr_count:     0
    .args:
      - .address_space:  global
        .offset:         0
        .size:           8
        .value_kind:     global_buffer
      - .address_space:  global
        .offset:         8
        .size:           8
        .value_kind:     global_buffer
      - .address_space:  global
        .offset:         16
        .size:           8
        .value_kind:     global_buffer
      - .address_space:  global
        .offset:         24
        .size:           8
        .value_kind:     global_buffer
      - .address_space:  global
        .offset:         32
        .size:           8
        .value_kind:     global_buffer
      - .address_space:  global
        .offset:         40
        .size:           8
        .value_kind:     global_buffer
      - .address_space:  global
        .offset:         48
        .size:           8
        .value_kind:     global_buffer
      - .address_space:  global
        .offset:         56
        .size:           8
        .value_kind:     global_buffer
      - .offset:         64
        .size:           4
        .value_kind:     by_value
      - .offset:         68
        .size:           4
        .value_kind:     by_value
      - .offset:         72
        .size:           4
        .value_kind:     by_value
      - .offset:         76
        .size:           4
        .value_kind:     by_value
      - .offset:         80
        .size:           4
        .value_kind:     by_value
      - .offset:         84
        .size:           4
        .value_kind:     by_value
      - .offset:         88
        .size:           4
        .value_kind:     by_value
      - .offset:         92
        .size:           12
        .value_kind:     by_value
      - .offset:         104
        .size:           4
        .value_kind:     by_value
      - .offset:         108
        .size:           4
        .value_kind:     by_value
      - .offset:         112
        .size:           4
        .value_kind:     by_value
      - .offset:         116
        .size:           4
        .value_kind:     by_value
      - .offset:         120
        .size:           4
        .value_kind:     by_value
      - .offset:         124
        .size:           4
        .value_kind:     by_value
      - .offset:         128
        .size:           4
        .value_kind:     by_value
      - .offset:         132
        .size:           4
        .value_kind:     by_value
      - .offset:         136
        .size:           4
        .value_kind:     by_value
      - .offset:         140
        .size:           4
        .value_kind:     by_value
      - .offset:         144
        .size:           4
        .value_kind:     by_value
      - .offset:         152
        .size:           8
        .value_kind:     by_value
      - .offset:         160
        .size:           4
        .value_kind:     by_value
      - .offset:         164
        .size:           4
        .value_kind:     by_value
      - .offset:         168
        .size:           8
        .value_kind:     by_value
      - .offset:         176
        .size:           4
        .value_kind:     by_value
      - .offset:         180
        .size:           4
        .value_kind:     by_value
      - .offset:         184
        .size:           4
        .value_kind:     by_value
      - .offset:         188
        .size:           4
        .value_kind:     by_value
      - .offset:         192
        .size:           4
        .value_kind:     by_value
      - .offset:         200
        .size:           8
        .value_kind:     by_value
      - .offset:         208
        .size:           4
        .value_kind:     hidden_block_count_x
      - .offset:         212
        .size:           4
        .value_kind:     hidden_block_count_y
      - .offset:         216
        .size:           4
        .value_kind:     hidden_block_count_z
      - .offset:         220
        .size:           2
        .value_kind:     hidden_group_size_x
      - .offset:         222
        .size:           2
        .value_kind:     hidden_group_size_y
      - .offset:         224
        .size:           2
        .value_kind:     hidden_group_size_z
      - .offset:         226
        .size:           2
        .value_kind:     hidden_remainder_x
      - .offset:         228
        .size:           2
        .value_kind:     hidden_remainder_y
      - .offset:         230
        .size:           2
        .value_kind:     hidden_remainder_z
      - .offset:         248
        .size:           8
        .value_kind:     hidden_global_offset_x
      - .offset:         256
        .size:           8
        .value_kind:     hidden_global_offset_y
      - .offset:         264
        .size:           8
        .value_kind:     hidden_global_offset_z
      - .offset:         272
        .size:           2
        .value_kind:     hidden_grid_dims
      - .offset:         288
        .size:           8
        .value_kind:     hidden_hostcall_buffer
    .group_segment_fixed_size: 0
    .kernarg_segment_align: 8
    .kernarg_segment_size: 464
    .language:       OpenCL C
    .language_version:
      - 2
      - 0
    .max_flat_workgroup_size: 128
    .name:           _ZL18flash_attn_ext_vecILi64ELi1EL9ggml_type3ELS0_30ELb1EEvPKcS2_S2_S2_S2_PKiPfP15HIP_vector_typeIfLj2EEffffjfiS6_IjLj3EEiiiiiiiiiiiliiliiiiil
    .private_segment_fixed_size: 16
    .sgpr_count:     40
    .sgpr_spill_count: 0
    .symbol:         _ZL18flash_attn_ext_vecILi64ELi1EL9ggml_type3ELS0_30ELb1EEvPKcS2_S2_S2_S2_PKiPfP15HIP_vector_typeIfLj2EEffffjfiS6_IjLj3EEiiiiiiiiiiiliiliiiiil.kd
    .uniform_work_group_size: 1
    .uses_dynamic_stack: false
    .vgpr_count:     52
    .vgpr_spill_count: 0
    .wavefront_size: 64
  - .agpr_count:     0
    .args:
      - .address_space:  global
        .offset:         0
        .size:           8
        .value_kind:     global_buffer
      - .address_space:  global
        .offset:         8
        .size:           8
        .value_kind:     global_buffer
      - .address_space:  global
        .offset:         16
        .size:           8
        .value_kind:     global_buffer
      - .address_space:  global
        .offset:         24
        .size:           8
        .value_kind:     global_buffer
      - .address_space:  global
        .offset:         32
        .size:           8
        .value_kind:     global_buffer
      - .address_space:  global
        .offset:         40
        .size:           8
        .value_kind:     global_buffer
      - .address_space:  global
        .offset:         48
        .size:           8
        .value_kind:     global_buffer
      - .address_space:  global
        .offset:         56
        .size:           8
        .value_kind:     global_buffer
      - .offset:         64
        .size:           4
        .value_kind:     by_value
      - .offset:         68
        .size:           4
        .value_kind:     by_value
      - .offset:         72
        .size:           4
        .value_kind:     by_value
      - .offset:         76
        .size:           4
        .value_kind:     by_value
      - .offset:         80
        .size:           4
        .value_kind:     by_value
      - .offset:         84
        .size:           4
        .value_kind:     by_value
      - .offset:         88
        .size:           4
        .value_kind:     by_value
      - .offset:         92
        .size:           12
        .value_kind:     by_value
      - .offset:         104
        .size:           4
        .value_kind:     by_value
      - .offset:         108
        .size:           4
        .value_kind:     by_value
      - .offset:         112
        .size:           4
        .value_kind:     by_value
      - .offset:         116
        .size:           4
        .value_kind:     by_value
      - .offset:         120
        .size:           4
        .value_kind:     by_value
      - .offset:         124
        .size:           4
        .value_kind:     by_value
      - .offset:         128
        .size:           4
        .value_kind:     by_value
      - .offset:         132
        .size:           4
        .value_kind:     by_value
      - .offset:         136
        .size:           4
        .value_kind:     by_value
      - .offset:         140
        .size:           4
        .value_kind:     by_value
      - .offset:         144
        .size:           4
        .value_kind:     by_value
      - .offset:         152
        .size:           8
        .value_kind:     by_value
      - .offset:         160
        .size:           4
        .value_kind:     by_value
      - .offset:         164
        .size:           4
        .value_kind:     by_value
      - .offset:         168
        .size:           8
        .value_kind:     by_value
      - .offset:         176
        .size:           4
        .value_kind:     by_value
      - .offset:         180
        .size:           4
        .value_kind:     by_value
      - .offset:         184
        .size:           4
        .value_kind:     by_value
      - .offset:         188
        .size:           4
        .value_kind:     by_value
      - .offset:         192
        .size:           4
        .value_kind:     by_value
      - .offset:         200
        .size:           8
        .value_kind:     by_value
      - .offset:         208
        .size:           4
        .value_kind:     hidden_block_count_x
      - .offset:         212
        .size:           4
        .value_kind:     hidden_block_count_y
      - .offset:         216
        .size:           4
        .value_kind:     hidden_block_count_z
      - .offset:         220
        .size:           2
        .value_kind:     hidden_group_size_x
      - .offset:         222
        .size:           2
        .value_kind:     hidden_group_size_y
      - .offset:         224
        .size:           2
        .value_kind:     hidden_group_size_z
      - .offset:         226
        .size:           2
        .value_kind:     hidden_remainder_x
      - .offset:         228
        .size:           2
        .value_kind:     hidden_remainder_y
      - .offset:         230
        .size:           2
        .value_kind:     hidden_remainder_z
      - .offset:         248
        .size:           8
        .value_kind:     hidden_global_offset_x
      - .offset:         256
        .size:           8
        .value_kind:     hidden_global_offset_y
      - .offset:         264
        .size:           8
        .value_kind:     hidden_global_offset_z
      - .offset:         272
        .size:           2
        .value_kind:     hidden_grid_dims
    .group_segment_fixed_size: 6656
    .kernarg_segment_align: 8
    .kernarg_segment_size: 464
    .language:       OpenCL C
    .language_version:
      - 2
      - 0
    .max_flat_workgroup_size: 128
    .name:           _ZL18flash_attn_ext_vecILi64ELi2EL9ggml_type3ELS0_30ELb0EEvPKcS2_S2_S2_S2_PKiPfP15HIP_vector_typeIfLj2EEffffjfiS6_IjLj3EEiiiiiiiiiiiliiliiiiil
    .private_segment_fixed_size: 0
    .sgpr_count:     79
    .sgpr_spill_count: 0
    .symbol:         _ZL18flash_attn_ext_vecILi64ELi2EL9ggml_type3ELS0_30ELb0EEvPKcS2_S2_S2_S2_PKiPfP15HIP_vector_typeIfLj2EEffffjfiS6_IjLj3EEiiiiiiiiiiiliiliiiiil.kd
    .uniform_work_group_size: 1
    .uses_dynamic_stack: false
    .vgpr_count:     120
    .vgpr_spill_count: 0
    .wavefront_size: 64
  - .agpr_count:     0
    .args:
      - .actual_access:  read_only
        .address_space:  global
        .offset:         0
        .size:           8
        .value_kind:     global_buffer
      - .actual_access:  write_only
        .address_space:  global
        .offset:         8
        .size:           8
        .value_kind:     global_buffer
      - .offset:         16
        .size:           4
        .value_kind:     by_value
      - .offset:         20
        .size:           4
        .value_kind:     by_value
      - .offset:         24
        .size:           4
        .value_kind:     by_value
      - .offset:         32
        .size:           4
        .value_kind:     hidden_block_count_x
      - .offset:         36
        .size:           4
        .value_kind:     hidden_block_count_y
      - .offset:         40
        .size:           4
        .value_kind:     hidden_block_count_z
      - .offset:         44
        .size:           2
        .value_kind:     hidden_group_size_x
      - .offset:         46
        .size:           2
        .value_kind:     hidden_group_size_y
      - .offset:         48
        .size:           2
        .value_kind:     hidden_group_size_z
      - .offset:         50
        .size:           2
        .value_kind:     hidden_remainder_x
      - .offset:         52
        .size:           2
        .value_kind:     hidden_remainder_y
      - .offset:         54
        .size:           2
        .value_kind:     hidden_remainder_z
      - .offset:         72
        .size:           8
        .value_kind:     hidden_global_offset_x
      - .offset:         80
        .size:           8
        .value_kind:     hidden_global_offset_y
      - .offset:         88
        .size:           8
        .value_kind:     hidden_global_offset_z
      - .offset:         96
        .size:           2
        .value_kind:     hidden_grid_dims
    .group_segment_fixed_size: 128
    .kernarg_segment_align: 8
    .kernarg_segment_size: 288
    .language:       OpenCL C
    .language_version:
      - 2
      - 0
    .max_flat_workgroup_size: 128
    .name:           _ZL25flash_attn_mask_to_KV_maxILi2EEvPK7__half2Piiii
    .private_segment_fixed_size: 0
    .sgpr_count:     28
    .sgpr_spill_count: 0
    .symbol:         _ZL25flash_attn_mask_to_KV_maxILi2EEvPK7__half2Piiii.kd
    .uniform_work_group_size: 1
    .uses_dynamic_stack: false
    .vgpr_count:     17
    .vgpr_spill_count: 0
    .wavefront_size: 64
  - .agpr_count:     0
    .args:
      - .address_space:  global
        .offset:         0
        .size:           8
        .value_kind:     global_buffer
      - .address_space:  global
        .offset:         8
        .size:           8
        .value_kind:     global_buffer
      - .offset:         16
        .size:           4
        .value_kind:     by_value
      - .offset:         20
        .size:           4
        .value_kind:     by_value
      - .offset:         24
        .size:           4
        .value_kind:     by_value
      - .offset:         28
        .size:           4
        .value_kind:     by_value
      - .offset:         32
        .size:           4
        .value_kind:     by_value
      - .offset:         36
        .size:           4
        .value_kind:     by_value
      - .offset:         40
        .size:           12
        .value_kind:     by_value
      - .offset:         52
        .size:           12
        .value_kind:     by_value
      - .offset:         64
        .size:           12
        .value_kind:     by_value
    .group_segment_fixed_size: 0
    .kernarg_segment_align: 8
    .kernarg_segment_size: 76
    .language:       OpenCL C
    .language_version:
      - 2
      - 0
    .max_flat_workgroup_size: 64
    .name:           _ZL33flash_attn_stream_k_fixup_uniformILi64ELi2ELi1EEvPfPK15HIP_vector_typeIfLj2EEiiiiiiS1_IjLj3EES5_S5_
    .private_segment_fixed_size: 0
    .sgpr_count:     30
    .sgpr_spill_count: 0
    .symbol:         _ZL33flash_attn_stream_k_fixup_uniformILi64ELi2ELi1EEvPfPK15HIP_vector_typeIfLj2EEiiiiiiS1_IjLj3EES5_S5_.kd
    .uniform_work_group_size: 1
    .uses_dynamic_stack: false
    .vgpr_count:     17
    .vgpr_spill_count: 0
    .wavefront_size: 64
  - .agpr_count:     0
    .args:
      - .address_space:  global
        .offset:         0
        .size:           8
        .value_kind:     global_buffer
      - .address_space:  global
        .offset:         8
        .size:           8
        .value_kind:     global_buffer
      - .offset:         16
        .size:           4
        .value_kind:     by_value
      - .offset:         20
        .size:           4
        .value_kind:     by_value
      - .offset:         24
        .size:           4
        .value_kind:     by_value
      - .offset:         28
        .size:           4
        .value_kind:     by_value
      - .offset:         32
        .size:           12
        .value_kind:     by_value
      - .offset:         44
        .size:           12
        .value_kind:     by_value
      - .offset:         56
        .size:           12
        .value_kind:     by_value
      - .offset:         68
        .size:           12
        .value_kind:     by_value
      - .offset:         80
        .size:           4
        .value_kind:     hidden_block_count_x
      - .offset:         84
        .size:           4
        .value_kind:     hidden_block_count_y
      - .offset:         88
        .size:           4
        .value_kind:     hidden_block_count_z
      - .offset:         92
        .size:           2
        .value_kind:     hidden_group_size_x
      - .offset:         94
        .size:           2
        .value_kind:     hidden_group_size_y
      - .offset:         96
        .size:           2
        .value_kind:     hidden_group_size_z
      - .offset:         98
        .size:           2
        .value_kind:     hidden_remainder_x
      - .offset:         100
        .size:           2
        .value_kind:     hidden_remainder_y
      - .offset:         102
        .size:           2
        .value_kind:     hidden_remainder_z
      - .offset:         120
        .size:           8
        .value_kind:     hidden_global_offset_x
      - .offset:         128
        .size:           8
        .value_kind:     hidden_global_offset_y
      - .offset:         136
        .size:           8
        .value_kind:     hidden_global_offset_z
      - .offset:         144
        .size:           2
        .value_kind:     hidden_grid_dims
    .group_segment_fixed_size: 0
    .kernarg_segment_align: 8
    .kernarg_segment_size: 336
    .language:       OpenCL C
    .language_version:
      - 2
      - 0
    .max_flat_workgroup_size: 64
    .name:           _ZL33flash_attn_stream_k_fixup_generalILi64ELi2ELi1EEvPfPK15HIP_vector_typeIfLj2EEiiiiS1_IjLj3EES5_S5_S5_
    .private_segment_fixed_size: 0
    .sgpr_count:     42
    .sgpr_spill_count: 0
    .symbol:         _ZL33flash_attn_stream_k_fixup_generalILi64ELi2ELi1EEvPfPK15HIP_vector_typeIfLj2EEiiiiS1_IjLj3EES5_S5_S5_.kd
    .uniform_work_group_size: 1
    .uses_dynamic_stack: false
    .vgpr_count:     18
    .vgpr_spill_count: 0
    .wavefront_size: 64
  - .agpr_count:     0
    .args:
      - .address_space:  global
        .offset:         0
        .size:           8
        .value_kind:     global_buffer
      - .address_space:  global
        .offset:         8
        .size:           8
        .value_kind:     global_buffer
      - .address_space:  global
        .offset:         16
        .size:           8
        .value_kind:     global_buffer
      - .address_space:  global
        .offset:         24
        .size:           8
        .value_kind:     global_buffer
      - .address_space:  global
        .offset:         32
        .size:           8
        .value_kind:     global_buffer
      - .address_space:  global
        .offset:         40
        .size:           8
        .value_kind:     global_buffer
      - .address_space:  global
        .offset:         48
        .size:           8
        .value_kind:     global_buffer
      - .address_space:  global
        .offset:         56
        .size:           8
        .value_kind:     global_buffer
      - .offset:         64
        .size:           4
        .value_kind:     by_value
      - .offset:         68
        .size:           4
        .value_kind:     by_value
      - .offset:         72
        .size:           4
        .value_kind:     by_value
      - .offset:         76
        .size:           4
        .value_kind:     by_value
      - .offset:         80
        .size:           4
        .value_kind:     by_value
      - .offset:         84
        .size:           4
        .value_kind:     by_value
      - .offset:         88
        .size:           4
        .value_kind:     by_value
      - .offset:         92
        .size:           12
        .value_kind:     by_value
      - .offset:         104
        .size:           4
        .value_kind:     by_value
      - .offset:         108
        .size:           4
        .value_kind:     by_value
      - .offset:         112
        .size:           4
        .value_kind:     by_value
      - .offset:         116
        .size:           4
        .value_kind:     by_value
      - .offset:         120
        .size:           4
        .value_kind:     by_value
      - .offset:         124
        .size:           4
        .value_kind:     by_value
      - .offset:         128
        .size:           4
        .value_kind:     by_value
      - .offset:         132
        .size:           4
        .value_kind:     by_value
      - .offset:         136
        .size:           4
        .value_kind:     by_value
      - .offset:         140
        .size:           4
        .value_kind:     by_value
      - .offset:         144
        .size:           4
        .value_kind:     by_value
      - .offset:         152
        .size:           8
        .value_kind:     by_value
      - .offset:         160
        .size:           4
        .value_kind:     by_value
      - .offset:         164
        .size:           4
        .value_kind:     by_value
      - .offset:         168
        .size:           8
        .value_kind:     by_value
      - .offset:         176
        .size:           4
        .value_kind:     by_value
      - .offset:         180
        .size:           4
        .value_kind:     by_value
      - .offset:         184
        .size:           4
        .value_kind:     by_value
      - .offset:         188
        .size:           4
        .value_kind:     by_value
      - .offset:         192
        .size:           4
        .value_kind:     by_value
      - .offset:         200
        .size:           8
        .value_kind:     by_value
      - .offset:         208
        .size:           4
        .value_kind:     hidden_block_count_x
      - .offset:         212
        .size:           4
        .value_kind:     hidden_block_count_y
      - .offset:         216
        .size:           4
        .value_kind:     hidden_block_count_z
      - .offset:         220
        .size:           2
        .value_kind:     hidden_group_size_x
      - .offset:         222
        .size:           2
        .value_kind:     hidden_group_size_y
      - .offset:         224
        .size:           2
        .value_kind:     hidden_group_size_z
      - .offset:         226
        .size:           2
        .value_kind:     hidden_remainder_x
      - .offset:         228
        .size:           2
        .value_kind:     hidden_remainder_y
      - .offset:         230
        .size:           2
        .value_kind:     hidden_remainder_z
      - .offset:         248
        .size:           8
        .value_kind:     hidden_global_offset_x
      - .offset:         256
        .size:           8
        .value_kind:     hidden_global_offset_y
      - .offset:         264
        .size:           8
        .value_kind:     hidden_global_offset_z
      - .offset:         272
        .size:           2
        .value_kind:     hidden_grid_dims
      - .offset:         288
        .size:           8
        .value_kind:     hidden_hostcall_buffer
    .group_segment_fixed_size: 0
    .kernarg_segment_align: 8
    .kernarg_segment_size: 464
    .language:       OpenCL C
    .language_version:
      - 2
      - 0
    .max_flat_workgroup_size: 128
    .name:           _ZL18flash_attn_ext_vecILi64ELi2EL9ggml_type3ELS0_30ELb1EEvPKcS2_S2_S2_S2_PKiPfP15HIP_vector_typeIfLj2EEffffjfiS6_IjLj3EEiiiiiiiiiiiliiliiiiil
    .private_segment_fixed_size: 16
    .sgpr_count:     40
    .sgpr_spill_count: 0
    .symbol:         _ZL18flash_attn_ext_vecILi64ELi2EL9ggml_type3ELS0_30ELb1EEvPKcS2_S2_S2_S2_PKiPfP15HIP_vector_typeIfLj2EEffffjfiS6_IjLj3EEiiiiiiiiiiiliiliiiiil.kd
    .uniform_work_group_size: 1
    .uses_dynamic_stack: false
    .vgpr_count:     52
    .vgpr_spill_count: 0
    .wavefront_size: 64
  - .agpr_count:     0
    .args:
      - .address_space:  global
        .offset:         0
        .size:           8
        .value_kind:     global_buffer
      - .address_space:  global
        .offset:         8
        .size:           8
        .value_kind:     global_buffer
      - .address_space:  global
        .offset:         16
        .size:           8
        .value_kind:     global_buffer
      - .address_space:  global
        .offset:         24
        .size:           8
        .value_kind:     global_buffer
      - .address_space:  global
        .offset:         32
        .size:           8
        .value_kind:     global_buffer
      - .address_space:  global
        .offset:         40
        .size:           8
        .value_kind:     global_buffer
      - .address_space:  global
        .offset:         48
        .size:           8
        .value_kind:     global_buffer
      - .address_space:  global
        .offset:         56
        .size:           8
        .value_kind:     global_buffer
      - .offset:         64
        .size:           4
        .value_kind:     by_value
      - .offset:         68
        .size:           4
        .value_kind:     by_value
      - .offset:         72
        .size:           4
        .value_kind:     by_value
      - .offset:         76
        .size:           4
        .value_kind:     by_value
      - .offset:         80
        .size:           4
        .value_kind:     by_value
      - .offset:         84
        .size:           4
        .value_kind:     by_value
      - .offset:         88
        .size:           4
        .value_kind:     by_value
      - .offset:         92
        .size:           12
        .value_kind:     by_value
      - .offset:         104
        .size:           4
        .value_kind:     by_value
      - .offset:         108
        .size:           4
        .value_kind:     by_value
      - .offset:         112
        .size:           4
        .value_kind:     by_value
      - .offset:         116
        .size:           4
        .value_kind:     by_value
      - .offset:         120
        .size:           4
        .value_kind:     by_value
      - .offset:         124
        .size:           4
        .value_kind:     by_value
      - .offset:         128
        .size:           4
        .value_kind:     by_value
      - .offset:         132
        .size:           4
        .value_kind:     by_value
      - .offset:         136
        .size:           4
        .value_kind:     by_value
      - .offset:         140
        .size:           4
        .value_kind:     by_value
      - .offset:         144
        .size:           4
        .value_kind:     by_value
      - .offset:         152
        .size:           8
        .value_kind:     by_value
      - .offset:         160
        .size:           4
        .value_kind:     by_value
      - .offset:         164
        .size:           4
        .value_kind:     by_value
      - .offset:         168
        .size:           8
        .value_kind:     by_value
      - .offset:         176
        .size:           4
        .value_kind:     by_value
      - .offset:         180
        .size:           4
        .value_kind:     by_value
      - .offset:         184
        .size:           4
        .value_kind:     by_value
      - .offset:         188
        .size:           4
        .value_kind:     by_value
      - .offset:         192
        .size:           4
        .value_kind:     by_value
      - .offset:         200
        .size:           8
        .value_kind:     by_value
      - .offset:         208
        .size:           4
        .value_kind:     hidden_block_count_x
      - .offset:         212
        .size:           4
        .value_kind:     hidden_block_count_y
      - .offset:         216
        .size:           4
        .value_kind:     hidden_block_count_z
      - .offset:         220
        .size:           2
        .value_kind:     hidden_group_size_x
      - .offset:         222
        .size:           2
        .value_kind:     hidden_group_size_y
      - .offset:         224
        .size:           2
        .value_kind:     hidden_group_size_z
      - .offset:         226
        .size:           2
        .value_kind:     hidden_remainder_x
      - .offset:         228
        .size:           2
        .value_kind:     hidden_remainder_y
      - .offset:         230
        .size:           2
        .value_kind:     hidden_remainder_z
      - .offset:         248
        .size:           8
        .value_kind:     hidden_global_offset_x
      - .offset:         256
        .size:           8
        .value_kind:     hidden_global_offset_y
      - .offset:         264
        .size:           8
        .value_kind:     hidden_global_offset_z
      - .offset:         272
        .size:           2
        .value_kind:     hidden_grid_dims
    .group_segment_fixed_size: 4352
    .kernarg_segment_align: 8
    .kernarg_segment_size: 464
    .language:       OpenCL C
    .language_version:
      - 2
      - 0
    .max_flat_workgroup_size: 128
    .name:           _ZL18flash_attn_ext_vecILi128ELi1EL9ggml_type3ELS0_30ELb0EEvPKcS2_S2_S2_S2_PKiPfP15HIP_vector_typeIfLj2EEffffjfiS6_IjLj3EEiiiiiiiiiiiliiliiiiil
    .private_segment_fixed_size: 0
    .sgpr_count:     73
    .sgpr_spill_count: 0
    .symbol:         _ZL18flash_attn_ext_vecILi128ELi1EL9ggml_type3ELS0_30ELb0EEvPKcS2_S2_S2_S2_PKiPfP15HIP_vector_typeIfLj2EEffffjfiS6_IjLj3EEiiiiiiiiiiiliiliiiiil.kd
    .uniform_work_group_size: 1
    .uses_dynamic_stack: false
    .vgpr_count:     114
    .vgpr_spill_count: 0
    .wavefront_size: 64
  - .agpr_count:     0
    .args:
      - .address_space:  global
        .offset:         0
        .size:           8
        .value_kind:     global_buffer
      - .address_space:  global
        .offset:         8
        .size:           8
        .value_kind:     global_buffer
      - .offset:         16
        .size:           4
        .value_kind:     by_value
      - .offset:         20
        .size:           4
        .value_kind:     by_value
      - .offset:         24
        .size:           4
        .value_kind:     by_value
      - .offset:         28
        .size:           4
        .value_kind:     by_value
      - .offset:         32
        .size:           4
        .value_kind:     by_value
      - .offset:         36
        .size:           4
        .value_kind:     by_value
      - .offset:         40
        .size:           12
        .value_kind:     by_value
      - .offset:         52
        .size:           12
        .value_kind:     by_value
      - .offset:         64
        .size:           12
        .value_kind:     by_value
    .group_segment_fixed_size: 0
    .kernarg_segment_align: 8
    .kernarg_segment_size: 76
    .language:       OpenCL C
    .language_version:
      - 2
      - 0
    .max_flat_workgroup_size: 128
    .name:           _ZL33flash_attn_stream_k_fixup_uniformILi128ELi1ELi1EEvPfPK15HIP_vector_typeIfLj2EEiiiiiiS1_IjLj3EES5_S5_
    .private_segment_fixed_size: 0
    .sgpr_count:     26
    .sgpr_spill_count: 0
    .symbol:         _ZL33flash_attn_stream_k_fixup_uniformILi128ELi1ELi1EEvPfPK15HIP_vector_typeIfLj2EEiiiiiiS1_IjLj3EES5_S5_.kd
    .uniform_work_group_size: 1
    .uses_dynamic_stack: false
    .vgpr_count:     17
    .vgpr_spill_count: 0
    .wavefront_size: 64
  - .agpr_count:     0
    .args:
      - .address_space:  global
        .offset:         0
        .size:           8
        .value_kind:     global_buffer
      - .address_space:  global
        .offset:         8
        .size:           8
        .value_kind:     global_buffer
      - .offset:         16
        .size:           4
        .value_kind:     by_value
      - .offset:         20
        .size:           4
        .value_kind:     by_value
      - .offset:         24
        .size:           4
        .value_kind:     by_value
      - .offset:         28
        .size:           4
        .value_kind:     by_value
      - .offset:         32
        .size:           12
        .value_kind:     by_value
      - .offset:         44
        .size:           12
        .value_kind:     by_value
      - .offset:         56
        .size:           12
        .value_kind:     by_value
      - .offset:         68
        .size:           12
        .value_kind:     by_value
      - .offset:         80
        .size:           4
        .value_kind:     hidden_block_count_x
      - .offset:         84
        .size:           4
        .value_kind:     hidden_block_count_y
      - .offset:         88
        .size:           4
        .value_kind:     hidden_block_count_z
      - .offset:         92
        .size:           2
        .value_kind:     hidden_group_size_x
      - .offset:         94
        .size:           2
        .value_kind:     hidden_group_size_y
      - .offset:         96
        .size:           2
        .value_kind:     hidden_group_size_z
      - .offset:         98
        .size:           2
        .value_kind:     hidden_remainder_x
      - .offset:         100
        .size:           2
        .value_kind:     hidden_remainder_y
      - .offset:         102
        .size:           2
        .value_kind:     hidden_remainder_z
      - .offset:         120
        .size:           8
        .value_kind:     hidden_global_offset_x
      - .offset:         128
        .size:           8
        .value_kind:     hidden_global_offset_y
      - .offset:         136
        .size:           8
        .value_kind:     hidden_global_offset_z
      - .offset:         144
        .size:           2
        .value_kind:     hidden_grid_dims
    .group_segment_fixed_size: 0
    .kernarg_segment_align: 8
    .kernarg_segment_size: 336
    .language:       OpenCL C
    .language_version:
      - 2
      - 0
    .max_flat_workgroup_size: 128
    .name:           _ZL33flash_attn_stream_k_fixup_generalILi128ELi1ELi1EEvPfPK15HIP_vector_typeIfLj2EEiiiiS1_IjLj3EES5_S5_S5_
    .private_segment_fixed_size: 0
    .sgpr_count:     42
    .sgpr_spill_count: 0
    .symbol:         _ZL33flash_attn_stream_k_fixup_generalILi128ELi1ELi1EEvPfPK15HIP_vector_typeIfLj2EEiiiiS1_IjLj3EES5_S5_S5_.kd
    .uniform_work_group_size: 1
    .uses_dynamic_stack: false
    .vgpr_count:     18
    .vgpr_spill_count: 0
    .wavefront_size: 64
  - .agpr_count:     0
    .args:
      - .address_space:  global
        .offset:         0
        .size:           8
        .value_kind:     global_buffer
      - .address_space:  global
        .offset:         8
        .size:           8
        .value_kind:     global_buffer
      - .address_space:  global
        .offset:         16
        .size:           8
        .value_kind:     global_buffer
      - .offset:         24
        .size:           4
        .value_kind:     by_value
      - .offset:         32
        .size:           4
        .value_kind:     hidden_block_count_x
      - .offset:         36
        .size:           4
        .value_kind:     hidden_block_count_y
      - .offset:         40
        .size:           4
        .value_kind:     hidden_block_count_z
      - .offset:         44
        .size:           2
        .value_kind:     hidden_group_size_x
      - .offset:         46
        .size:           2
        .value_kind:     hidden_group_size_y
      - .offset:         48
        .size:           2
        .value_kind:     hidden_group_size_z
      - .offset:         50
        .size:           2
        .value_kind:     hidden_remainder_x
      - .offset:         52
        .size:           2
        .value_kind:     hidden_remainder_y
      - .offset:         54
        .size:           2
        .value_kind:     hidden_remainder_z
      - .offset:         72
        .size:           8
        .value_kind:     hidden_global_offset_x
      - .offset:         80
        .size:           8
        .value_kind:     hidden_global_offset_y
      - .offset:         88
        .size:           8
        .value_kind:     hidden_global_offset_z
      - .offset:         96
        .size:           2
        .value_kind:     hidden_grid_dims
      - .offset:         152
        .size:           4
        .value_kind:     hidden_dynamic_lds_size
    .group_segment_fixed_size: 0
    .kernarg_segment_align: 8
    .kernarg_segment_size: 288
    .language:       OpenCL C
    .language_version:
      - 2
      - 0
    .max_flat_workgroup_size: 128
    .name:           _ZL26flash_attn_combine_resultsILi128EEvPKfPK15HIP_vector_typeIfLj2EEPfi
    .private_segment_fixed_size: 0
    .sgpr_count:     32
    .sgpr_spill_count: 0
    .symbol:         _ZL26flash_attn_combine_resultsILi128EEvPKfPK15HIP_vector_typeIfLj2EEPfi.kd
    .uniform_work_group_size: 1
    .uses_dynamic_stack: false
    .vgpr_count:     59
    .vgpr_spill_count: 0
    .wavefront_size: 64
  - .agpr_count:     0
    .args:
      - .address_space:  global
        .offset:         0
        .size:           8
        .value_kind:     global_buffer
      - .address_space:  global
        .offset:         8
        .size:           8
        .value_kind:     global_buffer
      - .address_space:  global
        .offset:         16
        .size:           8
        .value_kind:     global_buffer
      - .address_space:  global
        .offset:         24
        .size:           8
        .value_kind:     global_buffer
      - .address_space:  global
        .offset:         32
        .size:           8
        .value_kind:     global_buffer
      - .address_space:  global
        .offset:         40
        .size:           8
        .value_kind:     global_buffer
      - .address_space:  global
        .offset:         48
        .size:           8
        .value_kind:     global_buffer
      - .address_space:  global
        .offset:         56
        .size:           8
        .value_kind:     global_buffer
      - .offset:         64
        .size:           4
        .value_kind:     by_value
      - .offset:         68
        .size:           4
        .value_kind:     by_value
      - .offset:         72
        .size:           4
        .value_kind:     by_value
      - .offset:         76
        .size:           4
        .value_kind:     by_value
      - .offset:         80
        .size:           4
        .value_kind:     by_value
      - .offset:         84
        .size:           4
        .value_kind:     by_value
      - .offset:         88
        .size:           4
        .value_kind:     by_value
      - .offset:         92
        .size:           12
        .value_kind:     by_value
      - .offset:         104
        .size:           4
        .value_kind:     by_value
      - .offset:         108
        .size:           4
        .value_kind:     by_value
      - .offset:         112
        .size:           4
        .value_kind:     by_value
      - .offset:         116
        .size:           4
        .value_kind:     by_value
      - .offset:         120
        .size:           4
        .value_kind:     by_value
      - .offset:         124
        .size:           4
        .value_kind:     by_value
      - .offset:         128
        .size:           4
        .value_kind:     by_value
      - .offset:         132
        .size:           4
        .value_kind:     by_value
      - .offset:         136
        .size:           4
        .value_kind:     by_value
      - .offset:         140
        .size:           4
        .value_kind:     by_value
      - .offset:         144
        .size:           4
        .value_kind:     by_value
      - .offset:         152
        .size:           8
        .value_kind:     by_value
      - .offset:         160
        .size:           4
        .value_kind:     by_value
      - .offset:         164
        .size:           4
        .value_kind:     by_value
      - .offset:         168
        .size:           8
        .value_kind:     by_value
      - .offset:         176
        .size:           4
        .value_kind:     by_value
      - .offset:         180
        .size:           4
        .value_kind:     by_value
      - .offset:         184
        .size:           4
        .value_kind:     by_value
      - .offset:         188
        .size:           4
        .value_kind:     by_value
      - .offset:         192
        .size:           4
        .value_kind:     by_value
      - .offset:         200
        .size:           8
        .value_kind:     by_value
      - .offset:         208
        .size:           4
        .value_kind:     hidden_block_count_x
      - .offset:         212
        .size:           4
        .value_kind:     hidden_block_count_y
      - .offset:         216
        .size:           4
        .value_kind:     hidden_block_count_z
      - .offset:         220
        .size:           2
        .value_kind:     hidden_group_size_x
      - .offset:         222
        .size:           2
        .value_kind:     hidden_group_size_y
      - .offset:         224
        .size:           2
        .value_kind:     hidden_group_size_z
      - .offset:         226
        .size:           2
        .value_kind:     hidden_remainder_x
      - .offset:         228
        .size:           2
        .value_kind:     hidden_remainder_y
      - .offset:         230
        .size:           2
        .value_kind:     hidden_remainder_z
      - .offset:         248
        .size:           8
        .value_kind:     hidden_global_offset_x
      - .offset:         256
        .size:           8
        .value_kind:     hidden_global_offset_y
      - .offset:         264
        .size:           8
        .value_kind:     hidden_global_offset_z
      - .offset:         272
        .size:           2
        .value_kind:     hidden_grid_dims
    .group_segment_fixed_size: 4352
    .kernarg_segment_align: 8
    .kernarg_segment_size: 464
    .language:       OpenCL C
    .language_version:
      - 2
      - 0
    .max_flat_workgroup_size: 128
    .name:           _ZL18flash_attn_ext_vecILi128ELi1EL9ggml_type3ELS0_30ELb1EEvPKcS2_S2_S2_S2_PKiPfP15HIP_vector_typeIfLj2EEffffjfiS6_IjLj3EEiiiiiiiiiiiliiliiiiil
    .private_segment_fixed_size: 0
    .sgpr_count:     74
    .sgpr_spill_count: 0
    .symbol:         _ZL18flash_attn_ext_vecILi128ELi1EL9ggml_type3ELS0_30ELb1EEvPKcS2_S2_S2_S2_PKiPfP15HIP_vector_typeIfLj2EEffffjfiS6_IjLj3EEiiiiiiiiiiiliiliiiiil.kd
    .uniform_work_group_size: 1
    .uses_dynamic_stack: false
    .vgpr_count:     116
    .vgpr_spill_count: 0
    .wavefront_size: 64
  - .agpr_count:     0
    .args:
      - .address_space:  global
        .offset:         0
        .size:           8
        .value_kind:     global_buffer
      - .address_space:  global
        .offset:         8
        .size:           8
        .value_kind:     global_buffer
      - .address_space:  global
        .offset:         16
        .size:           8
        .value_kind:     global_buffer
      - .address_space:  global
        .offset:         24
        .size:           8
        .value_kind:     global_buffer
      - .address_space:  global
        .offset:         32
        .size:           8
        .value_kind:     global_buffer
      - .address_space:  global
        .offset:         40
        .size:           8
        .value_kind:     global_buffer
      - .address_space:  global
        .offset:         48
        .size:           8
        .value_kind:     global_buffer
      - .address_space:  global
        .offset:         56
        .size:           8
        .value_kind:     global_buffer
      - .offset:         64
        .size:           4
        .value_kind:     by_value
      - .offset:         68
        .size:           4
        .value_kind:     by_value
      - .offset:         72
        .size:           4
        .value_kind:     by_value
      - .offset:         76
        .size:           4
        .value_kind:     by_value
      - .offset:         80
        .size:           4
        .value_kind:     by_value
      - .offset:         84
        .size:           4
        .value_kind:     by_value
      - .offset:         88
        .size:           4
        .value_kind:     by_value
      - .offset:         92
        .size:           12
        .value_kind:     by_value
      - .offset:         104
        .size:           4
        .value_kind:     by_value
      - .offset:         108
        .size:           4
        .value_kind:     by_value
      - .offset:         112
        .size:           4
        .value_kind:     by_value
      - .offset:         116
        .size:           4
        .value_kind:     by_value
      - .offset:         120
        .size:           4
        .value_kind:     by_value
      - .offset:         124
        .size:           4
        .value_kind:     by_value
      - .offset:         128
        .size:           4
        .value_kind:     by_value
      - .offset:         132
        .size:           4
        .value_kind:     by_value
      - .offset:         136
        .size:           4
        .value_kind:     by_value
      - .offset:         140
        .size:           4
        .value_kind:     by_value
      - .offset:         144
        .size:           4
        .value_kind:     by_value
      - .offset:         152
        .size:           8
        .value_kind:     by_value
      - .offset:         160
        .size:           4
        .value_kind:     by_value
      - .offset:         164
        .size:           4
        .value_kind:     by_value
      - .offset:         168
        .size:           8
        .value_kind:     by_value
      - .offset:         176
        .size:           4
        .value_kind:     by_value
      - .offset:         180
        .size:           4
        .value_kind:     by_value
      - .offset:         184
        .size:           4
        .value_kind:     by_value
      - .offset:         188
        .size:           4
        .value_kind:     by_value
      - .offset:         192
        .size:           4
        .value_kind:     by_value
      - .offset:         200
        .size:           8
        .value_kind:     by_value
      - .offset:         208
        .size:           4
        .value_kind:     hidden_block_count_x
      - .offset:         212
        .size:           4
        .value_kind:     hidden_block_count_y
      - .offset:         216
        .size:           4
        .value_kind:     hidden_block_count_z
      - .offset:         220
        .size:           2
        .value_kind:     hidden_group_size_x
      - .offset:         222
        .size:           2
        .value_kind:     hidden_group_size_y
      - .offset:         224
        .size:           2
        .value_kind:     hidden_group_size_z
      - .offset:         226
        .size:           2
        .value_kind:     hidden_remainder_x
      - .offset:         228
        .size:           2
        .value_kind:     hidden_remainder_y
      - .offset:         230
        .size:           2
        .value_kind:     hidden_remainder_z
      - .offset:         248
        .size:           8
        .value_kind:     hidden_global_offset_x
      - .offset:         256
        .size:           8
        .value_kind:     hidden_global_offset_y
      - .offset:         264
        .size:           8
        .value_kind:     hidden_global_offset_z
      - .offset:         272
        .size:           2
        .value_kind:     hidden_grid_dims
    .group_segment_fixed_size: 4608
    .kernarg_segment_align: 8
    .kernarg_segment_size: 464
    .language:       OpenCL C
    .language_version:
      - 2
      - 0
    .max_flat_workgroup_size: 128
    .name:           _ZL18flash_attn_ext_vecILi128ELi2EL9ggml_type3ELS0_30ELb0EEvPKcS2_S2_S2_S2_PKiPfP15HIP_vector_typeIfLj2EEffffjfiS6_IjLj3EEiiiiiiiiiiiliiliiiiil
    .private_segment_fixed_size: 80
    .sgpr_count:     77
    .sgpr_spill_count: 0
    .symbol:         _ZL18flash_attn_ext_vecILi128ELi2EL9ggml_type3ELS0_30ELb0EEvPKcS2_S2_S2_S2_PKiPfP15HIP_vector_typeIfLj2EEffffjfiS6_IjLj3EEiiiiiiiiiiiliiliiiiil.kd
    .uniform_work_group_size: 1
    .uses_dynamic_stack: false
    .vgpr_count:     132
    .vgpr_spill_count: 0
    .wavefront_size: 64
  - .agpr_count:     0
    .args:
      - .address_space:  global
        .offset:         0
        .size:           8
        .value_kind:     global_buffer
      - .address_space:  global
        .offset:         8
        .size:           8
        .value_kind:     global_buffer
      - .offset:         16
        .size:           4
        .value_kind:     by_value
      - .offset:         20
        .size:           4
        .value_kind:     by_value
      - .offset:         24
        .size:           4
        .value_kind:     by_value
      - .offset:         28
        .size:           4
        .value_kind:     by_value
      - .offset:         32
        .size:           4
        .value_kind:     by_value
      - .offset:         36
        .size:           4
        .value_kind:     by_value
      - .offset:         40
        .size:           12
        .value_kind:     by_value
      - .offset:         52
        .size:           12
        .value_kind:     by_value
      - .offset:         64
        .size:           12
        .value_kind:     by_value
    .group_segment_fixed_size: 0
    .kernarg_segment_align: 8
    .kernarg_segment_size: 76
    .language:       OpenCL C
    .language_version:
      - 2
      - 0
    .max_flat_workgroup_size: 128
    .name:           _ZL33flash_attn_stream_k_fixup_uniformILi128ELi2ELi1EEvPfPK15HIP_vector_typeIfLj2EEiiiiiiS1_IjLj3EES5_S5_
    .private_segment_fixed_size: 0
    .sgpr_count:     30
    .sgpr_spill_count: 0
    .symbol:         _ZL33flash_attn_stream_k_fixup_uniformILi128ELi2ELi1EEvPfPK15HIP_vector_typeIfLj2EEiiiiiiS1_IjLj3EES5_S5_.kd
    .uniform_work_group_size: 1
    .uses_dynamic_stack: false
    .vgpr_count:     17
    .vgpr_spill_count: 0
    .wavefront_size: 64
  - .agpr_count:     0
    .args:
      - .address_space:  global
        .offset:         0
        .size:           8
        .value_kind:     global_buffer
      - .address_space:  global
        .offset:         8
        .size:           8
        .value_kind:     global_buffer
      - .offset:         16
        .size:           4
        .value_kind:     by_value
      - .offset:         20
        .size:           4
        .value_kind:     by_value
      - .offset:         24
        .size:           4
        .value_kind:     by_value
      - .offset:         28
        .size:           4
        .value_kind:     by_value
      - .offset:         32
        .size:           12
        .value_kind:     by_value
      - .offset:         44
        .size:           12
        .value_kind:     by_value
      - .offset:         56
        .size:           12
        .value_kind:     by_value
      - .offset:         68
        .size:           12
        .value_kind:     by_value
      - .offset:         80
        .size:           4
        .value_kind:     hidden_block_count_x
      - .offset:         84
        .size:           4
        .value_kind:     hidden_block_count_y
      - .offset:         88
        .size:           4
        .value_kind:     hidden_block_count_z
      - .offset:         92
        .size:           2
        .value_kind:     hidden_group_size_x
      - .offset:         94
        .size:           2
        .value_kind:     hidden_group_size_y
      - .offset:         96
        .size:           2
        .value_kind:     hidden_group_size_z
      - .offset:         98
        .size:           2
        .value_kind:     hidden_remainder_x
      - .offset:         100
        .size:           2
        .value_kind:     hidden_remainder_y
      - .offset:         102
        .size:           2
        .value_kind:     hidden_remainder_z
      - .offset:         120
        .size:           8
        .value_kind:     hidden_global_offset_x
      - .offset:         128
        .size:           8
        .value_kind:     hidden_global_offset_y
      - .offset:         136
        .size:           8
        .value_kind:     hidden_global_offset_z
      - .offset:         144
        .size:           2
        .value_kind:     hidden_grid_dims
    .group_segment_fixed_size: 0
    .kernarg_segment_align: 8
    .kernarg_segment_size: 336
    .language:       OpenCL C
    .language_version:
      - 2
      - 0
    .max_flat_workgroup_size: 128
    .name:           _ZL33flash_attn_stream_k_fixup_generalILi128ELi2ELi1EEvPfPK15HIP_vector_typeIfLj2EEiiiiS1_IjLj3EES5_S5_S5_
    .private_segment_fixed_size: 0
    .sgpr_count:     42
    .sgpr_spill_count: 0
    .symbol:         _ZL33flash_attn_stream_k_fixup_generalILi128ELi2ELi1EEvPfPK15HIP_vector_typeIfLj2EEiiiiS1_IjLj3EES5_S5_S5_.kd
    .uniform_work_group_size: 1
    .uses_dynamic_stack: false
    .vgpr_count:     18
    .vgpr_spill_count: 0
    .wavefront_size: 64
  - .agpr_count:     0
    .args:
      - .address_space:  global
        .offset:         0
        .size:           8
        .value_kind:     global_buffer
      - .address_space:  global
        .offset:         8
        .size:           8
        .value_kind:     global_buffer
      - .address_space:  global
        .offset:         16
        .size:           8
        .value_kind:     global_buffer
      - .address_space:  global
        .offset:         24
        .size:           8
        .value_kind:     global_buffer
      - .address_space:  global
        .offset:         32
        .size:           8
        .value_kind:     global_buffer
      - .address_space:  global
        .offset:         40
        .size:           8
        .value_kind:     global_buffer
      - .address_space:  global
        .offset:         48
        .size:           8
        .value_kind:     global_buffer
      - .address_space:  global
        .offset:         56
        .size:           8
        .value_kind:     global_buffer
      - .offset:         64
        .size:           4
        .value_kind:     by_value
      - .offset:         68
        .size:           4
        .value_kind:     by_value
      - .offset:         72
        .size:           4
        .value_kind:     by_value
      - .offset:         76
        .size:           4
        .value_kind:     by_value
      - .offset:         80
        .size:           4
        .value_kind:     by_value
      - .offset:         84
        .size:           4
        .value_kind:     by_value
      - .offset:         88
        .size:           4
        .value_kind:     by_value
      - .offset:         92
        .size:           12
        .value_kind:     by_value
      - .offset:         104
        .size:           4
        .value_kind:     by_value
      - .offset:         108
        .size:           4
        .value_kind:     by_value
      - .offset:         112
        .size:           4
        .value_kind:     by_value
      - .offset:         116
        .size:           4
        .value_kind:     by_value
      - .offset:         120
        .size:           4
        .value_kind:     by_value
      - .offset:         124
        .size:           4
        .value_kind:     by_value
      - .offset:         128
        .size:           4
        .value_kind:     by_value
      - .offset:         132
        .size:           4
        .value_kind:     by_value
      - .offset:         136
        .size:           4
        .value_kind:     by_value
      - .offset:         140
        .size:           4
        .value_kind:     by_value
      - .offset:         144
        .size:           4
        .value_kind:     by_value
      - .offset:         152
        .size:           8
        .value_kind:     by_value
      - .offset:         160
        .size:           4
        .value_kind:     by_value
      - .offset:         164
        .size:           4
        .value_kind:     by_value
      - .offset:         168
        .size:           8
        .value_kind:     by_value
      - .offset:         176
        .size:           4
        .value_kind:     by_value
      - .offset:         180
        .size:           4
        .value_kind:     by_value
      - .offset:         184
        .size:           4
        .value_kind:     by_value
      - .offset:         188
        .size:           4
        .value_kind:     by_value
      - .offset:         192
        .size:           4
        .value_kind:     by_value
      - .offset:         200
        .size:           8
        .value_kind:     by_value
      - .offset:         208
        .size:           4
        .value_kind:     hidden_block_count_x
      - .offset:         212
        .size:           4
        .value_kind:     hidden_block_count_y
      - .offset:         216
        .size:           4
        .value_kind:     hidden_block_count_z
      - .offset:         220
        .size:           2
        .value_kind:     hidden_group_size_x
      - .offset:         222
        .size:           2
        .value_kind:     hidden_group_size_y
      - .offset:         224
        .size:           2
        .value_kind:     hidden_group_size_z
      - .offset:         226
        .size:           2
        .value_kind:     hidden_remainder_x
      - .offset:         228
        .size:           2
        .value_kind:     hidden_remainder_y
      - .offset:         230
        .size:           2
        .value_kind:     hidden_remainder_z
      - .offset:         248
        .size:           8
        .value_kind:     hidden_global_offset_x
      - .offset:         256
        .size:           8
        .value_kind:     hidden_global_offset_y
      - .offset:         264
        .size:           8
        .value_kind:     hidden_global_offset_z
      - .offset:         272
        .size:           2
        .value_kind:     hidden_grid_dims
    .group_segment_fixed_size: 4608
    .kernarg_segment_align: 8
    .kernarg_segment_size: 464
    .language:       OpenCL C
    .language_version:
      - 2
      - 0
    .max_flat_workgroup_size: 128
    .name:           _ZL18flash_attn_ext_vecILi128ELi2EL9ggml_type3ELS0_30ELb1EEvPKcS2_S2_S2_S2_PKiPfP15HIP_vector_typeIfLj2EEffffjfiS6_IjLj3EEiiiiiiiiiiiliiliiiiil
    .private_segment_fixed_size: 80
    .sgpr_count:     79
    .sgpr_spill_count: 0
    .symbol:         _ZL18flash_attn_ext_vecILi128ELi2EL9ggml_type3ELS0_30ELb1EEvPKcS2_S2_S2_S2_PKiPfP15HIP_vector_typeIfLj2EEffffjfiS6_IjLj3EEiiiiiiiiiiiliiliiiiil.kd
    .uniform_work_group_size: 1
    .uses_dynamic_stack: false
    .vgpr_count:     132
    .vgpr_spill_count: 0
    .wavefront_size: 64
  - .agpr_count:     0
    .args:
      - .address_space:  global
        .offset:         0
        .size:           8
        .value_kind:     global_buffer
      - .address_space:  global
        .offset:         8
        .size:           8
        .value_kind:     global_buffer
      - .address_space:  global
        .offset:         16
        .size:           8
        .value_kind:     global_buffer
      - .address_space:  global
        .offset:         24
        .size:           8
        .value_kind:     global_buffer
      - .address_space:  global
        .offset:         32
        .size:           8
        .value_kind:     global_buffer
      - .address_space:  global
        .offset:         40
        .size:           8
        .value_kind:     global_buffer
      - .address_space:  global
        .offset:         48
        .size:           8
        .value_kind:     global_buffer
      - .address_space:  global
        .offset:         56
        .size:           8
        .value_kind:     global_buffer
      - .offset:         64
        .size:           4
        .value_kind:     by_value
      - .offset:         68
        .size:           4
        .value_kind:     by_value
      - .offset:         72
        .size:           4
        .value_kind:     by_value
      - .offset:         76
        .size:           4
        .value_kind:     by_value
      - .offset:         80
        .size:           4
        .value_kind:     by_value
      - .offset:         84
        .size:           4
        .value_kind:     by_value
      - .offset:         88
        .size:           4
        .value_kind:     by_value
      - .offset:         92
        .size:           12
        .value_kind:     by_value
      - .offset:         104
        .size:           4
        .value_kind:     by_value
      - .offset:         108
        .size:           4
        .value_kind:     by_value
      - .offset:         112
        .size:           4
        .value_kind:     by_value
      - .offset:         116
        .size:           4
        .value_kind:     by_value
      - .offset:         120
        .size:           4
        .value_kind:     by_value
      - .offset:         124
        .size:           4
        .value_kind:     by_value
      - .offset:         128
        .size:           4
        .value_kind:     by_value
      - .offset:         132
        .size:           4
        .value_kind:     by_value
      - .offset:         136
        .size:           4
        .value_kind:     by_value
      - .offset:         140
        .size:           4
        .value_kind:     by_value
      - .offset:         144
        .size:           4
        .value_kind:     by_value
      - .offset:         152
        .size:           8
        .value_kind:     by_value
      - .offset:         160
        .size:           4
        .value_kind:     by_value
      - .offset:         164
        .size:           4
        .value_kind:     by_value
      - .offset:         168
        .size:           8
        .value_kind:     by_value
      - .offset:         176
        .size:           4
        .value_kind:     by_value
      - .offset:         180
        .size:           4
        .value_kind:     by_value
      - .offset:         184
        .size:           4
        .value_kind:     by_value
      - .offset:         188
        .size:           4
        .value_kind:     by_value
      - .offset:         192
        .size:           4
        .value_kind:     by_value
      - .offset:         200
        .size:           8
        .value_kind:     by_value
      - .offset:         208
        .size:           4
        .value_kind:     hidden_block_count_x
      - .offset:         212
        .size:           4
        .value_kind:     hidden_block_count_y
      - .offset:         216
        .size:           4
        .value_kind:     hidden_block_count_z
      - .offset:         220
        .size:           2
        .value_kind:     hidden_group_size_x
      - .offset:         222
        .size:           2
        .value_kind:     hidden_group_size_y
      - .offset:         224
        .size:           2
        .value_kind:     hidden_group_size_z
      - .offset:         226
        .size:           2
        .value_kind:     hidden_remainder_x
      - .offset:         228
        .size:           2
        .value_kind:     hidden_remainder_y
      - .offset:         230
        .size:           2
        .value_kind:     hidden_remainder_z
      - .offset:         248
        .size:           8
        .value_kind:     hidden_global_offset_x
      - .offset:         256
        .size:           8
        .value_kind:     hidden_global_offset_y
      - .offset:         264
        .size:           8
        .value_kind:     hidden_global_offset_z
      - .offset:         272
        .size:           2
        .value_kind:     hidden_grid_dims
    .group_segment_fixed_size: 8448
    .kernarg_segment_align: 8
    .kernarg_segment_size: 464
    .language:       OpenCL C
    .language_version:
      - 2
      - 0
    .max_flat_workgroup_size: 128
    .name:           _ZL18flash_attn_ext_vecILi256ELi1EL9ggml_type3ELS0_30ELb0EEvPKcS2_S2_S2_S2_PKiPfP15HIP_vector_typeIfLj2EEffffjfiS6_IjLj3EEiiiiiiiiiiiliiliiiiil
    .private_segment_fixed_size: 0
    .sgpr_count:     62
    .sgpr_spill_count: 0
    .symbol:         _ZL18flash_attn_ext_vecILi256ELi1EL9ggml_type3ELS0_30ELb0EEvPKcS2_S2_S2_S2_PKiPfP15HIP_vector_typeIfLj2EEffffjfiS6_IjLj3EEiiiiiiiiiiiliiliiiiil.kd
    .uniform_work_group_size: 1
    .uses_dynamic_stack: false
    .vgpr_count:     113
    .vgpr_spill_count: 0
    .wavefront_size: 64
  - .agpr_count:     0
    .args:
      - .address_space:  global
        .offset:         0
        .size:           8
        .value_kind:     global_buffer
      - .address_space:  global
        .offset:         8
        .size:           8
        .value_kind:     global_buffer
      - .offset:         16
        .size:           4
        .value_kind:     by_value
      - .offset:         20
        .size:           4
        .value_kind:     by_value
      - .offset:         24
        .size:           4
        .value_kind:     by_value
      - .offset:         28
        .size:           4
        .value_kind:     by_value
      - .offset:         32
        .size:           4
        .value_kind:     by_value
      - .offset:         36
        .size:           4
        .value_kind:     by_value
      - .offset:         40
        .size:           12
        .value_kind:     by_value
      - .offset:         52
        .size:           12
        .value_kind:     by_value
      - .offset:         64
        .size:           12
        .value_kind:     by_value
    .group_segment_fixed_size: 0
    .kernarg_segment_align: 8
    .kernarg_segment_size: 76
    .language:       OpenCL C
    .language_version:
      - 2
      - 0
    .max_flat_workgroup_size: 256
    .name:           _ZL33flash_attn_stream_k_fixup_uniformILi256ELi1ELi1EEvPfPK15HIP_vector_typeIfLj2EEiiiiiiS1_IjLj3EES5_S5_
    .private_segment_fixed_size: 0
    .sgpr_count:     26
    .sgpr_spill_count: 0
    .symbol:         _ZL33flash_attn_stream_k_fixup_uniformILi256ELi1ELi1EEvPfPK15HIP_vector_typeIfLj2EEiiiiiiS1_IjLj3EES5_S5_.kd
    .uniform_work_group_size: 1
    .uses_dynamic_stack: false
    .vgpr_count:     17
    .vgpr_spill_count: 0
    .wavefront_size: 64
  - .agpr_count:     0
    .args:
      - .address_space:  global
        .offset:         0
        .size:           8
        .value_kind:     global_buffer
      - .address_space:  global
        .offset:         8
        .size:           8
        .value_kind:     global_buffer
      - .offset:         16
        .size:           4
        .value_kind:     by_value
      - .offset:         20
        .size:           4
        .value_kind:     by_value
      - .offset:         24
        .size:           4
        .value_kind:     by_value
      - .offset:         28
        .size:           4
        .value_kind:     by_value
      - .offset:         32
        .size:           12
        .value_kind:     by_value
      - .offset:         44
        .size:           12
        .value_kind:     by_value
      - .offset:         56
        .size:           12
        .value_kind:     by_value
      - .offset:         68
        .size:           12
        .value_kind:     by_value
      - .offset:         80
        .size:           4
        .value_kind:     hidden_block_count_x
      - .offset:         84
        .size:           4
        .value_kind:     hidden_block_count_y
      - .offset:         88
        .size:           4
        .value_kind:     hidden_block_count_z
      - .offset:         92
        .size:           2
        .value_kind:     hidden_group_size_x
      - .offset:         94
        .size:           2
        .value_kind:     hidden_group_size_y
      - .offset:         96
        .size:           2
        .value_kind:     hidden_group_size_z
      - .offset:         98
        .size:           2
        .value_kind:     hidden_remainder_x
      - .offset:         100
        .size:           2
        .value_kind:     hidden_remainder_y
      - .offset:         102
        .size:           2
        .value_kind:     hidden_remainder_z
      - .offset:         120
        .size:           8
        .value_kind:     hidden_global_offset_x
      - .offset:         128
        .size:           8
        .value_kind:     hidden_global_offset_y
      - .offset:         136
        .size:           8
        .value_kind:     hidden_global_offset_z
      - .offset:         144
        .size:           2
        .value_kind:     hidden_grid_dims
    .group_segment_fixed_size: 0
    .kernarg_segment_align: 8
    .kernarg_segment_size: 336
    .language:       OpenCL C
    .language_version:
      - 2
      - 0
    .max_flat_workgroup_size: 256
    .name:           _ZL33flash_attn_stream_k_fixup_generalILi256ELi1ELi1EEvPfPK15HIP_vector_typeIfLj2EEiiiiS1_IjLj3EES5_S5_S5_
    .private_segment_fixed_size: 0
    .sgpr_count:     42
    .sgpr_spill_count: 0
    .symbol:         _ZL33flash_attn_stream_k_fixup_generalILi256ELi1ELi1EEvPfPK15HIP_vector_typeIfLj2EEiiiiS1_IjLj3EES5_S5_S5_.kd
    .uniform_work_group_size: 1
    .uses_dynamic_stack: false
    .vgpr_count:     18
    .vgpr_spill_count: 0
    .wavefront_size: 64
  - .agpr_count:     0
    .args:
      - .address_space:  global
        .offset:         0
        .size:           8
        .value_kind:     global_buffer
      - .address_space:  global
        .offset:         8
        .size:           8
        .value_kind:     global_buffer
      - .address_space:  global
        .offset:         16
        .size:           8
        .value_kind:     global_buffer
      - .offset:         24
        .size:           4
        .value_kind:     by_value
      - .offset:         32
        .size:           4
        .value_kind:     hidden_block_count_x
      - .offset:         36
        .size:           4
        .value_kind:     hidden_block_count_y
      - .offset:         40
        .size:           4
        .value_kind:     hidden_block_count_z
      - .offset:         44
        .size:           2
        .value_kind:     hidden_group_size_x
      - .offset:         46
        .size:           2
        .value_kind:     hidden_group_size_y
      - .offset:         48
        .size:           2
        .value_kind:     hidden_group_size_z
      - .offset:         50
        .size:           2
        .value_kind:     hidden_remainder_x
      - .offset:         52
        .size:           2
        .value_kind:     hidden_remainder_y
      - .offset:         54
        .size:           2
        .value_kind:     hidden_remainder_z
      - .offset:         72
        .size:           8
        .value_kind:     hidden_global_offset_x
      - .offset:         80
        .size:           8
        .value_kind:     hidden_global_offset_y
      - .offset:         88
        .size:           8
        .value_kind:     hidden_global_offset_z
      - .offset:         96
        .size:           2
        .value_kind:     hidden_grid_dims
      - .offset:         152
        .size:           4
        .value_kind:     hidden_dynamic_lds_size
    .group_segment_fixed_size: 0
    .kernarg_segment_align: 8
    .kernarg_segment_size: 288
    .language:       OpenCL C
    .language_version:
      - 2
      - 0
    .max_flat_workgroup_size: 256
    .name:           _ZL26flash_attn_combine_resultsILi256EEvPKfPK15HIP_vector_typeIfLj2EEPfi
    .private_segment_fixed_size: 0
    .sgpr_count:     32
    .sgpr_spill_count: 0
    .symbol:         _ZL26flash_attn_combine_resultsILi256EEvPKfPK15HIP_vector_typeIfLj2EEPfi.kd
    .uniform_work_group_size: 1
    .uses_dynamic_stack: false
    .vgpr_count:     59
    .vgpr_spill_count: 0
    .wavefront_size: 64
  - .agpr_count:     0
    .args:
      - .address_space:  global
        .offset:         0
        .size:           8
        .value_kind:     global_buffer
      - .address_space:  global
        .offset:         8
        .size:           8
        .value_kind:     global_buffer
      - .address_space:  global
        .offset:         16
        .size:           8
        .value_kind:     global_buffer
      - .address_space:  global
        .offset:         24
        .size:           8
        .value_kind:     global_buffer
      - .address_space:  global
        .offset:         32
        .size:           8
        .value_kind:     global_buffer
      - .address_space:  global
        .offset:         40
        .size:           8
        .value_kind:     global_buffer
      - .address_space:  global
        .offset:         48
        .size:           8
        .value_kind:     global_buffer
      - .address_space:  global
        .offset:         56
        .size:           8
        .value_kind:     global_buffer
      - .offset:         64
        .size:           4
        .value_kind:     by_value
      - .offset:         68
        .size:           4
        .value_kind:     by_value
      - .offset:         72
        .size:           4
        .value_kind:     by_value
      - .offset:         76
        .size:           4
        .value_kind:     by_value
      - .offset:         80
        .size:           4
        .value_kind:     by_value
      - .offset:         84
        .size:           4
        .value_kind:     by_value
      - .offset:         88
        .size:           4
        .value_kind:     by_value
      - .offset:         92
        .size:           12
        .value_kind:     by_value
      - .offset:         104
        .size:           4
        .value_kind:     by_value
      - .offset:         108
        .size:           4
        .value_kind:     by_value
      - .offset:         112
        .size:           4
        .value_kind:     by_value
      - .offset:         116
        .size:           4
        .value_kind:     by_value
      - .offset:         120
        .size:           4
        .value_kind:     by_value
      - .offset:         124
        .size:           4
        .value_kind:     by_value
      - .offset:         128
        .size:           4
        .value_kind:     by_value
      - .offset:         132
        .size:           4
        .value_kind:     by_value
      - .offset:         136
        .size:           4
        .value_kind:     by_value
      - .offset:         140
        .size:           4
        .value_kind:     by_value
      - .offset:         144
        .size:           4
        .value_kind:     by_value
      - .offset:         152
        .size:           8
        .value_kind:     by_value
      - .offset:         160
        .size:           4
        .value_kind:     by_value
      - .offset:         164
        .size:           4
        .value_kind:     by_value
      - .offset:         168
        .size:           8
        .value_kind:     by_value
      - .offset:         176
        .size:           4
        .value_kind:     by_value
      - .offset:         180
        .size:           4
        .value_kind:     by_value
      - .offset:         184
        .size:           4
        .value_kind:     by_value
      - .offset:         188
        .size:           4
        .value_kind:     by_value
      - .offset:         192
        .size:           4
        .value_kind:     by_value
      - .offset:         200
        .size:           8
        .value_kind:     by_value
      - .offset:         208
        .size:           4
        .value_kind:     hidden_block_count_x
      - .offset:         212
        .size:           4
        .value_kind:     hidden_block_count_y
      - .offset:         216
        .size:           4
        .value_kind:     hidden_block_count_z
      - .offset:         220
        .size:           2
        .value_kind:     hidden_group_size_x
      - .offset:         222
        .size:           2
        .value_kind:     hidden_group_size_y
      - .offset:         224
        .size:           2
        .value_kind:     hidden_group_size_z
      - .offset:         226
        .size:           2
        .value_kind:     hidden_remainder_x
      - .offset:         228
        .size:           2
        .value_kind:     hidden_remainder_y
      - .offset:         230
        .size:           2
        .value_kind:     hidden_remainder_z
      - .offset:         248
        .size:           8
        .value_kind:     hidden_global_offset_x
      - .offset:         256
        .size:           8
        .value_kind:     hidden_global_offset_y
      - .offset:         264
        .size:           8
        .value_kind:     hidden_global_offset_z
      - .offset:         272
        .size:           2
        .value_kind:     hidden_grid_dims
    .group_segment_fixed_size: 8448
    .kernarg_segment_align: 8
    .kernarg_segment_size: 464
    .language:       OpenCL C
    .language_version:
      - 2
      - 0
    .max_flat_workgroup_size: 128
    .name:           _ZL18flash_attn_ext_vecILi256ELi1EL9ggml_type3ELS0_30ELb1EEvPKcS2_S2_S2_S2_PKiPfP15HIP_vector_typeIfLj2EEffffjfiS6_IjLj3EEiiiiiiiiiiiliiliiiiil
    .private_segment_fixed_size: 0
    .sgpr_count:     62
    .sgpr_spill_count: 0
    .symbol:         _ZL18flash_attn_ext_vecILi256ELi1EL9ggml_type3ELS0_30ELb1EEvPKcS2_S2_S2_S2_PKiPfP15HIP_vector_typeIfLj2EEffffjfiS6_IjLj3EEiiiiiiiiiiiliiliiiiil.kd
    .uniform_work_group_size: 1
    .uses_dynamic_stack: false
    .vgpr_count:     115
    .vgpr_spill_count: 0
    .wavefront_size: 64
  - .agpr_count:     0
    .args:
      - .address_space:  global
        .offset:         0
        .size:           8
        .value_kind:     global_buffer
      - .address_space:  global
        .offset:         8
        .size:           8
        .value_kind:     global_buffer
      - .address_space:  global
        .offset:         16
        .size:           8
        .value_kind:     global_buffer
      - .address_space:  global
        .offset:         24
        .size:           8
        .value_kind:     global_buffer
      - .address_space:  global
        .offset:         32
        .size:           8
        .value_kind:     global_buffer
      - .address_space:  global
        .offset:         40
        .size:           8
        .value_kind:     global_buffer
      - .address_space:  global
        .offset:         48
        .size:           8
        .value_kind:     global_buffer
      - .address_space:  global
        .offset:         56
        .size:           8
        .value_kind:     global_buffer
      - .offset:         64
        .size:           4
        .value_kind:     by_value
      - .offset:         68
        .size:           4
        .value_kind:     by_value
      - .offset:         72
        .size:           4
        .value_kind:     by_value
      - .offset:         76
        .size:           4
        .value_kind:     by_value
      - .offset:         80
        .size:           4
        .value_kind:     by_value
      - .offset:         84
        .size:           4
        .value_kind:     by_value
      - .offset:         88
        .size:           4
        .value_kind:     by_value
      - .offset:         92
        .size:           12
        .value_kind:     by_value
      - .offset:         104
        .size:           4
        .value_kind:     by_value
      - .offset:         108
        .size:           4
        .value_kind:     by_value
      - .offset:         112
        .size:           4
        .value_kind:     by_value
      - .offset:         116
        .size:           4
        .value_kind:     by_value
      - .offset:         120
        .size:           4
        .value_kind:     by_value
      - .offset:         124
        .size:           4
        .value_kind:     by_value
      - .offset:         128
        .size:           4
        .value_kind:     by_value
      - .offset:         132
        .size:           4
        .value_kind:     by_value
      - .offset:         136
        .size:           4
        .value_kind:     by_value
      - .offset:         140
        .size:           4
        .value_kind:     by_value
      - .offset:         144
        .size:           4
        .value_kind:     by_value
      - .offset:         152
        .size:           8
        .value_kind:     by_value
      - .offset:         160
        .size:           4
        .value_kind:     by_value
      - .offset:         164
        .size:           4
        .value_kind:     by_value
      - .offset:         168
        .size:           8
        .value_kind:     by_value
      - .offset:         176
        .size:           4
        .value_kind:     by_value
      - .offset:         180
        .size:           4
        .value_kind:     by_value
      - .offset:         184
        .size:           4
        .value_kind:     by_value
      - .offset:         188
        .size:           4
        .value_kind:     by_value
      - .offset:         192
        .size:           4
        .value_kind:     by_value
      - .offset:         200
        .size:           8
        .value_kind:     by_value
      - .offset:         208
        .size:           4
        .value_kind:     hidden_block_count_x
      - .offset:         212
        .size:           4
        .value_kind:     hidden_block_count_y
      - .offset:         216
        .size:           4
        .value_kind:     hidden_block_count_z
      - .offset:         220
        .size:           2
        .value_kind:     hidden_group_size_x
      - .offset:         222
        .size:           2
        .value_kind:     hidden_group_size_y
      - .offset:         224
        .size:           2
        .value_kind:     hidden_group_size_z
      - .offset:         226
        .size:           2
        .value_kind:     hidden_remainder_x
      - .offset:         228
        .size:           2
        .value_kind:     hidden_remainder_y
      - .offset:         230
        .size:           2
        .value_kind:     hidden_remainder_z
      - .offset:         248
        .size:           8
        .value_kind:     hidden_global_offset_x
      - .offset:         256
        .size:           8
        .value_kind:     hidden_global_offset_y
      - .offset:         264
        .size:           8
        .value_kind:     hidden_global_offset_z
      - .offset:         272
        .size:           2
        .value_kind:     hidden_grid_dims
    .group_segment_fixed_size: 8704
    .kernarg_segment_align: 8
    .kernarg_segment_size: 464
    .language:       OpenCL C
    .language_version:
      - 2
      - 0
    .max_flat_workgroup_size: 128
    .name:           _ZL18flash_attn_ext_vecILi256ELi2EL9ggml_type3ELS0_30ELb0EEvPKcS2_S2_S2_S2_PKiPfP15HIP_vector_typeIfLj2EEffffjfiS6_IjLj3EEiiiiiiiiiiiliiliiiiil
    .private_segment_fixed_size: 144
    .sgpr_count:     61
    .sgpr_spill_count: 0
    .symbol:         _ZL18flash_attn_ext_vecILi256ELi2EL9ggml_type3ELS0_30ELb0EEvPKcS2_S2_S2_S2_PKiPfP15HIP_vector_typeIfLj2EEffffjfiS6_IjLj3EEiiiiiiiiiiiliiliiiiil.kd
    .uniform_work_group_size: 1
    .uses_dynamic_stack: false
    .vgpr_count:     166
    .vgpr_spill_count: 0
    .wavefront_size: 64
  - .agpr_count:     0
    .args:
      - .address_space:  global
        .offset:         0
        .size:           8
        .value_kind:     global_buffer
      - .address_space:  global
        .offset:         8
        .size:           8
        .value_kind:     global_buffer
      - .offset:         16
        .size:           4
        .value_kind:     by_value
      - .offset:         20
        .size:           4
        .value_kind:     by_value
      - .offset:         24
        .size:           4
        .value_kind:     by_value
      - .offset:         28
        .size:           4
        .value_kind:     by_value
      - .offset:         32
        .size:           4
        .value_kind:     by_value
      - .offset:         36
        .size:           4
        .value_kind:     by_value
      - .offset:         40
        .size:           12
        .value_kind:     by_value
      - .offset:         52
        .size:           12
        .value_kind:     by_value
      - .offset:         64
        .size:           12
        .value_kind:     by_value
    .group_segment_fixed_size: 0
    .kernarg_segment_align: 8
    .kernarg_segment_size: 76
    .language:       OpenCL C
    .language_version:
      - 2
      - 0
    .max_flat_workgroup_size: 256
    .name:           _ZL33flash_attn_stream_k_fixup_uniformILi256ELi2ELi1EEvPfPK15HIP_vector_typeIfLj2EEiiiiiiS1_IjLj3EES5_S5_
    .private_segment_fixed_size: 0
    .sgpr_count:     30
    .sgpr_spill_count: 0
    .symbol:         _ZL33flash_attn_stream_k_fixup_uniformILi256ELi2ELi1EEvPfPK15HIP_vector_typeIfLj2EEiiiiiiS1_IjLj3EES5_S5_.kd
    .uniform_work_group_size: 1
    .uses_dynamic_stack: false
    .vgpr_count:     17
    .vgpr_spill_count: 0
    .wavefront_size: 64
  - .agpr_count:     0
    .args:
      - .address_space:  global
        .offset:         0
        .size:           8
        .value_kind:     global_buffer
      - .address_space:  global
        .offset:         8
        .size:           8
        .value_kind:     global_buffer
      - .offset:         16
        .size:           4
        .value_kind:     by_value
      - .offset:         20
        .size:           4
        .value_kind:     by_value
      - .offset:         24
        .size:           4
        .value_kind:     by_value
      - .offset:         28
        .size:           4
        .value_kind:     by_value
      - .offset:         32
        .size:           12
        .value_kind:     by_value
      - .offset:         44
        .size:           12
        .value_kind:     by_value
      - .offset:         56
        .size:           12
        .value_kind:     by_value
      - .offset:         68
        .size:           12
        .value_kind:     by_value
      - .offset:         80
        .size:           4
        .value_kind:     hidden_block_count_x
      - .offset:         84
        .size:           4
        .value_kind:     hidden_block_count_y
      - .offset:         88
        .size:           4
        .value_kind:     hidden_block_count_z
      - .offset:         92
        .size:           2
        .value_kind:     hidden_group_size_x
      - .offset:         94
        .size:           2
        .value_kind:     hidden_group_size_y
      - .offset:         96
        .size:           2
        .value_kind:     hidden_group_size_z
      - .offset:         98
        .size:           2
        .value_kind:     hidden_remainder_x
      - .offset:         100
        .size:           2
        .value_kind:     hidden_remainder_y
      - .offset:         102
        .size:           2
        .value_kind:     hidden_remainder_z
      - .offset:         120
        .size:           8
        .value_kind:     hidden_global_offset_x
      - .offset:         128
        .size:           8
        .value_kind:     hidden_global_offset_y
      - .offset:         136
        .size:           8
        .value_kind:     hidden_global_offset_z
      - .offset:         144
        .size:           2
        .value_kind:     hidden_grid_dims
    .group_segment_fixed_size: 0
    .kernarg_segment_align: 8
    .kernarg_segment_size: 336
    .language:       OpenCL C
    .language_version:
      - 2
      - 0
    .max_flat_workgroup_size: 256
    .name:           _ZL33flash_attn_stream_k_fixup_generalILi256ELi2ELi1EEvPfPK15HIP_vector_typeIfLj2EEiiiiS1_IjLj3EES5_S5_S5_
    .private_segment_fixed_size: 0
    .sgpr_count:     42
    .sgpr_spill_count: 0
    .symbol:         _ZL33flash_attn_stream_k_fixup_generalILi256ELi2ELi1EEvPfPK15HIP_vector_typeIfLj2EEiiiiS1_IjLj3EES5_S5_S5_.kd
    .uniform_work_group_size: 1
    .uses_dynamic_stack: false
    .vgpr_count:     18
    .vgpr_spill_count: 0
    .wavefront_size: 64
  - .agpr_count:     0
    .args:
      - .address_space:  global
        .offset:         0
        .size:           8
        .value_kind:     global_buffer
      - .address_space:  global
        .offset:         8
        .size:           8
        .value_kind:     global_buffer
      - .address_space:  global
        .offset:         16
        .size:           8
        .value_kind:     global_buffer
      - .address_space:  global
        .offset:         24
        .size:           8
        .value_kind:     global_buffer
      - .address_space:  global
        .offset:         32
        .size:           8
        .value_kind:     global_buffer
      - .address_space:  global
        .offset:         40
        .size:           8
        .value_kind:     global_buffer
      - .address_space:  global
        .offset:         48
        .size:           8
        .value_kind:     global_buffer
      - .address_space:  global
        .offset:         56
        .size:           8
        .value_kind:     global_buffer
      - .offset:         64
        .size:           4
        .value_kind:     by_value
      - .offset:         68
        .size:           4
        .value_kind:     by_value
      - .offset:         72
        .size:           4
        .value_kind:     by_value
      - .offset:         76
        .size:           4
        .value_kind:     by_value
      - .offset:         80
        .size:           4
        .value_kind:     by_value
      - .offset:         84
        .size:           4
        .value_kind:     by_value
      - .offset:         88
        .size:           4
        .value_kind:     by_value
      - .offset:         92
        .size:           12
        .value_kind:     by_value
      - .offset:         104
        .size:           4
        .value_kind:     by_value
      - .offset:         108
        .size:           4
        .value_kind:     by_value
      - .offset:         112
        .size:           4
        .value_kind:     by_value
      - .offset:         116
        .size:           4
        .value_kind:     by_value
      - .offset:         120
        .size:           4
        .value_kind:     by_value
      - .offset:         124
        .size:           4
        .value_kind:     by_value
      - .offset:         128
        .size:           4
        .value_kind:     by_value
      - .offset:         132
        .size:           4
        .value_kind:     by_value
      - .offset:         136
        .size:           4
        .value_kind:     by_value
      - .offset:         140
        .size:           4
        .value_kind:     by_value
      - .offset:         144
        .size:           4
        .value_kind:     by_value
      - .offset:         152
        .size:           8
        .value_kind:     by_value
      - .offset:         160
        .size:           4
        .value_kind:     by_value
      - .offset:         164
        .size:           4
        .value_kind:     by_value
      - .offset:         168
        .size:           8
        .value_kind:     by_value
      - .offset:         176
        .size:           4
        .value_kind:     by_value
      - .offset:         180
        .size:           4
        .value_kind:     by_value
      - .offset:         184
        .size:           4
        .value_kind:     by_value
      - .offset:         188
        .size:           4
        .value_kind:     by_value
      - .offset:         192
        .size:           4
        .value_kind:     by_value
      - .offset:         200
        .size:           8
        .value_kind:     by_value
      - .offset:         208
        .size:           4
        .value_kind:     hidden_block_count_x
      - .offset:         212
        .size:           4
        .value_kind:     hidden_block_count_y
      - .offset:         216
        .size:           4
        .value_kind:     hidden_block_count_z
      - .offset:         220
        .size:           2
        .value_kind:     hidden_group_size_x
      - .offset:         222
        .size:           2
        .value_kind:     hidden_group_size_y
      - .offset:         224
        .size:           2
        .value_kind:     hidden_group_size_z
      - .offset:         226
        .size:           2
        .value_kind:     hidden_remainder_x
      - .offset:         228
        .size:           2
        .value_kind:     hidden_remainder_y
      - .offset:         230
        .size:           2
        .value_kind:     hidden_remainder_z
      - .offset:         248
        .size:           8
        .value_kind:     hidden_global_offset_x
      - .offset:         256
        .size:           8
        .value_kind:     hidden_global_offset_y
      - .offset:         264
        .size:           8
        .value_kind:     hidden_global_offset_z
      - .offset:         272
        .size:           2
        .value_kind:     hidden_grid_dims
    .group_segment_fixed_size: 8704
    .kernarg_segment_align: 8
    .kernarg_segment_size: 464
    .language:       OpenCL C
    .language_version:
      - 2
      - 0
    .max_flat_workgroup_size: 128
    .name:           _ZL18flash_attn_ext_vecILi256ELi2EL9ggml_type3ELS0_30ELb1EEvPKcS2_S2_S2_S2_PKiPfP15HIP_vector_typeIfLj2EEffffjfiS6_IjLj3EEiiiiiiiiiiiliiliiiiil
    .private_segment_fixed_size: 144
    .sgpr_count:     66
    .sgpr_spill_count: 0
    .symbol:         _ZL18flash_attn_ext_vecILi256ELi2EL9ggml_type3ELS0_30ELb1EEvPKcS2_S2_S2_S2_PKiPfP15HIP_vector_typeIfLj2EEffffjfiS6_IjLj3EEiiiiiiiiiiiliiliiiiil.kd
    .uniform_work_group_size: 1
    .uses_dynamic_stack: false
    .vgpr_count:     166
    .vgpr_spill_count: 0
    .wavefront_size: 64
amdhsa.target:   amdgcn-amd-amdhsa--gfx950
amdhsa.version:
  - 1
  - 2
...

	.end_amdgpu_metadata
